;; amdgpu-corpus repo=ROCm/rocFFT kind=compiled arch=gfx906 opt=O3
	.text
	.amdgcn_target "amdgcn-amd-amdhsa--gfx906"
	.amdhsa_code_object_version 6
	.protected	fft_rtc_back_len1176_factors_2_2_2_3_7_7_wgs_56_tpt_56_halfLds_sp_op_CI_CI_sbrr_dirReg ; -- Begin function fft_rtc_back_len1176_factors_2_2_2_3_7_7_wgs_56_tpt_56_halfLds_sp_op_CI_CI_sbrr_dirReg
	.globl	fft_rtc_back_len1176_factors_2_2_2_3_7_7_wgs_56_tpt_56_halfLds_sp_op_CI_CI_sbrr_dirReg
	.p2align	8
	.type	fft_rtc_back_len1176_factors_2_2_2_3_7_7_wgs_56_tpt_56_halfLds_sp_op_CI_CI_sbrr_dirReg,@function
fft_rtc_back_len1176_factors_2_2_2_3_7_7_wgs_56_tpt_56_halfLds_sp_op_CI_CI_sbrr_dirReg: ; @fft_rtc_back_len1176_factors_2_2_2_3_7_7_wgs_56_tpt_56_halfLds_sp_op_CI_CI_sbrr_dirReg
; %bb.0:
	s_load_dwordx4 s[16:19], s[4:5], 0x18
	s_load_dwordx4 s[12:15], s[4:5], 0x0
	;; [unrolled: 1-line block ×3, first 2 shown]
	v_mul_u32_u24_e32 v1, 0x493, v0
	v_mov_b32_e32 v5, 0
	s_waitcnt lgkmcnt(0)
	s_load_dwordx2 s[20:21], s[16:17], 0x0
	s_load_dwordx2 s[2:3], s[18:19], 0x0
	v_cmp_lt_u64_e64 s[0:1], s[14:15], 2
	v_mov_b32_e32 v19, 0
	v_add_u32_sdwa v7, s6, v1 dst_sel:DWORD dst_unused:UNUSED_PAD src0_sel:DWORD src1_sel:WORD_1
	v_mov_b32_e32 v8, v5
	s_and_b64 vcc, exec, s[0:1]
	v_mov_b32_e32 v20, 0
	s_cbranch_vccnz .LBB0_8
; %bb.1:
	s_load_dwordx2 s[0:1], s[4:5], 0x10
	s_add_u32 s6, s18, 8
	s_addc_u32 s7, s19, 0
	s_add_u32 s22, s16, 8
	s_addc_u32 s23, s17, 0
	v_mov_b32_e32 v19, 0
	s_waitcnt lgkmcnt(0)
	s_add_u32 s24, s0, 8
	v_mov_b32_e32 v20, 0
	v_mov_b32_e32 v1, v19
	s_addc_u32 s25, s1, 0
	s_mov_b64 s[26:27], 1
	v_mov_b32_e32 v2, v20
.LBB0_2:                                ; =>This Inner Loop Header: Depth=1
	s_load_dwordx2 s[28:29], s[24:25], 0x0
                                        ; implicit-def: $vgpr3_vgpr4
	s_waitcnt lgkmcnt(0)
	v_or_b32_e32 v6, s29, v8
	v_cmp_ne_u64_e32 vcc, 0, v[5:6]
	s_and_saveexec_b64 s[0:1], vcc
	s_xor_b64 s[30:31], exec, s[0:1]
	s_cbranch_execz .LBB0_4
; %bb.3:                                ;   in Loop: Header=BB0_2 Depth=1
	v_cvt_f32_u32_e32 v3, s28
	v_cvt_f32_u32_e32 v4, s29
	s_sub_u32 s0, 0, s28
	s_subb_u32 s1, 0, s29
	v_mac_f32_e32 v3, 0x4f800000, v4
	v_rcp_f32_e32 v3, v3
	v_mul_f32_e32 v3, 0x5f7ffffc, v3
	v_mul_f32_e32 v4, 0x2f800000, v3
	v_trunc_f32_e32 v4, v4
	v_mac_f32_e32 v3, 0xcf800000, v4
	v_cvt_u32_f32_e32 v4, v4
	v_cvt_u32_f32_e32 v3, v3
	v_mul_lo_u32 v6, s0, v4
	v_mul_hi_u32 v9, s0, v3
	v_mul_lo_u32 v11, s1, v3
	v_mul_lo_u32 v10, s0, v3
	v_add_u32_e32 v6, v9, v6
	v_add_u32_e32 v6, v6, v11
	v_mul_hi_u32 v9, v3, v10
	v_mul_lo_u32 v11, v3, v6
	v_mul_hi_u32 v13, v3, v6
	v_mul_hi_u32 v12, v4, v10
	v_mul_lo_u32 v10, v4, v10
	v_mul_hi_u32 v14, v4, v6
	v_add_co_u32_e32 v9, vcc, v9, v11
	v_addc_co_u32_e32 v11, vcc, 0, v13, vcc
	v_mul_lo_u32 v6, v4, v6
	v_add_co_u32_e32 v9, vcc, v9, v10
	v_addc_co_u32_e32 v9, vcc, v11, v12, vcc
	v_addc_co_u32_e32 v10, vcc, 0, v14, vcc
	v_add_co_u32_e32 v6, vcc, v9, v6
	v_addc_co_u32_e32 v9, vcc, 0, v10, vcc
	v_add_co_u32_e32 v3, vcc, v3, v6
	v_addc_co_u32_e32 v4, vcc, v4, v9, vcc
	v_mul_lo_u32 v6, s0, v4
	v_mul_hi_u32 v9, s0, v3
	v_mul_lo_u32 v10, s1, v3
	v_mul_lo_u32 v11, s0, v3
	v_add_u32_e32 v6, v9, v6
	v_add_u32_e32 v6, v6, v10
	v_mul_lo_u32 v12, v3, v6
	v_mul_hi_u32 v13, v3, v11
	v_mul_hi_u32 v14, v3, v6
	;; [unrolled: 1-line block ×3, first 2 shown]
	v_mul_lo_u32 v11, v4, v11
	v_mul_hi_u32 v9, v4, v6
	v_add_co_u32_e32 v12, vcc, v13, v12
	v_addc_co_u32_e32 v13, vcc, 0, v14, vcc
	v_mul_lo_u32 v6, v4, v6
	v_add_co_u32_e32 v11, vcc, v12, v11
	v_addc_co_u32_e32 v10, vcc, v13, v10, vcc
	v_addc_co_u32_e32 v9, vcc, 0, v9, vcc
	v_add_co_u32_e32 v6, vcc, v10, v6
	v_addc_co_u32_e32 v9, vcc, 0, v9, vcc
	v_add_co_u32_e32 v6, vcc, v3, v6
	v_addc_co_u32_e32 v9, vcc, v4, v9, vcc
	v_mad_u64_u32 v[3:4], s[0:1], v7, v9, 0
	v_mul_hi_u32 v10, v7, v6
	v_add_co_u32_e32 v11, vcc, v10, v3
	v_addc_co_u32_e32 v12, vcc, 0, v4, vcc
	v_mad_u64_u32 v[3:4], s[0:1], v8, v6, 0
	v_mad_u64_u32 v[9:10], s[0:1], v8, v9, 0
	v_add_co_u32_e32 v3, vcc, v11, v3
	v_addc_co_u32_e32 v3, vcc, v12, v4, vcc
	v_addc_co_u32_e32 v4, vcc, 0, v10, vcc
	v_add_co_u32_e32 v6, vcc, v3, v9
	v_addc_co_u32_e32 v9, vcc, 0, v4, vcc
	v_mul_lo_u32 v10, s29, v6
	v_mul_lo_u32 v11, s28, v9
	v_mad_u64_u32 v[3:4], s[0:1], s28, v6, 0
	v_add3_u32 v4, v4, v11, v10
	v_sub_u32_e32 v10, v8, v4
	v_mov_b32_e32 v11, s29
	v_sub_co_u32_e32 v3, vcc, v7, v3
	v_subb_co_u32_e64 v10, s[0:1], v10, v11, vcc
	v_subrev_co_u32_e64 v11, s[0:1], s28, v3
	v_subbrev_co_u32_e64 v10, s[0:1], 0, v10, s[0:1]
	v_cmp_le_u32_e64 s[0:1], s29, v10
	v_cndmask_b32_e64 v12, 0, -1, s[0:1]
	v_cmp_le_u32_e64 s[0:1], s28, v11
	v_cndmask_b32_e64 v11, 0, -1, s[0:1]
	v_cmp_eq_u32_e64 s[0:1], s29, v10
	v_cndmask_b32_e64 v10, v12, v11, s[0:1]
	v_add_co_u32_e64 v11, s[0:1], 2, v6
	v_addc_co_u32_e64 v12, s[0:1], 0, v9, s[0:1]
	v_add_co_u32_e64 v13, s[0:1], 1, v6
	v_addc_co_u32_e64 v14, s[0:1], 0, v9, s[0:1]
	v_subb_co_u32_e32 v4, vcc, v8, v4, vcc
	v_cmp_ne_u32_e64 s[0:1], 0, v10
	v_cmp_le_u32_e32 vcc, s29, v4
	v_cndmask_b32_e64 v10, v14, v12, s[0:1]
	v_cndmask_b32_e64 v12, 0, -1, vcc
	v_cmp_le_u32_e32 vcc, s28, v3
	v_cndmask_b32_e64 v3, 0, -1, vcc
	v_cmp_eq_u32_e32 vcc, s29, v4
	v_cndmask_b32_e32 v3, v12, v3, vcc
	v_cmp_ne_u32_e32 vcc, 0, v3
	v_cndmask_b32_e64 v3, v13, v11, s[0:1]
	v_cndmask_b32_e32 v4, v9, v10, vcc
	v_cndmask_b32_e32 v3, v6, v3, vcc
.LBB0_4:                                ;   in Loop: Header=BB0_2 Depth=1
	s_andn2_saveexec_b64 s[0:1], s[30:31]
	s_cbranch_execz .LBB0_6
; %bb.5:                                ;   in Loop: Header=BB0_2 Depth=1
	v_cvt_f32_u32_e32 v3, s28
	s_sub_i32 s30, 0, s28
	v_rcp_iflag_f32_e32 v3, v3
	v_mul_f32_e32 v3, 0x4f7ffffe, v3
	v_cvt_u32_f32_e32 v3, v3
	v_mul_lo_u32 v4, s30, v3
	v_mul_hi_u32 v4, v3, v4
	v_add_u32_e32 v3, v3, v4
	v_mul_hi_u32 v3, v7, v3
	v_mul_lo_u32 v4, v3, s28
	v_add_u32_e32 v6, 1, v3
	v_sub_u32_e32 v4, v7, v4
	v_subrev_u32_e32 v9, s28, v4
	v_cmp_le_u32_e32 vcc, s28, v4
	v_cndmask_b32_e32 v4, v4, v9, vcc
	v_cndmask_b32_e32 v3, v3, v6, vcc
	v_add_u32_e32 v6, 1, v3
	v_cmp_le_u32_e32 vcc, s28, v4
	v_cndmask_b32_e32 v3, v3, v6, vcc
	v_mov_b32_e32 v4, v5
.LBB0_6:                                ;   in Loop: Header=BB0_2 Depth=1
	s_or_b64 exec, exec, s[0:1]
	v_mul_lo_u32 v6, v4, s28
	v_mul_lo_u32 v11, v3, s29
	v_mad_u64_u32 v[9:10], s[0:1], v3, s28, 0
	s_load_dwordx2 s[0:1], s[22:23], 0x0
	s_load_dwordx2 s[28:29], s[6:7], 0x0
	v_add3_u32 v6, v10, v11, v6
	v_sub_co_u32_e32 v7, vcc, v7, v9
	v_subb_co_u32_e32 v6, vcc, v8, v6, vcc
	s_waitcnt lgkmcnt(0)
	v_mul_lo_u32 v8, s0, v6
	v_mul_lo_u32 v9, s1, v7
	v_mad_u64_u32 v[19:20], s[0:1], s0, v7, v[19:20]
	v_mul_lo_u32 v6, s28, v6
	v_mul_lo_u32 v10, s29, v7
	v_mad_u64_u32 v[1:2], s[0:1], s28, v7, v[1:2]
	s_add_u32 s26, s26, 1
	s_addc_u32 s27, s27, 0
	s_add_u32 s6, s6, 8
	v_add3_u32 v2, v10, v2, v6
	s_addc_u32 s7, s7, 0
	v_mov_b32_e32 v6, s14
	s_add_u32 s22, s22, 8
	v_mov_b32_e32 v7, s15
	s_addc_u32 s23, s23, 0
	v_cmp_ge_u64_e32 vcc, s[26:27], v[6:7]
	s_add_u32 s24, s24, 8
	v_add3_u32 v20, v9, v20, v8
	s_addc_u32 s25, s25, 0
	s_cbranch_vccnz .LBB0_9
; %bb.7:                                ;   in Loop: Header=BB0_2 Depth=1
	v_mov_b32_e32 v8, v4
	v_mov_b32_e32 v7, v3
	s_branch .LBB0_2
.LBB0_8:
	v_mov_b32_e32 v1, v19
	v_mov_b32_e32 v3, v7
	;; [unrolled: 1-line block ×4, first 2 shown]
.LBB0_9:
	s_load_dwordx2 s[0:1], s[4:5], 0x28
	s_lshl_b64 s[14:15], s[14:15], 3
	s_add_u32 s4, s18, s14
	s_addc_u32 s5, s19, s15
                                        ; implicit-def: $sgpr18
                                        ; implicit-def: $vgpr56
                                        ; implicit-def: $vgpr57
                                        ; implicit-def: $vgpr58
                                        ; implicit-def: $vgpr59
                                        ; implicit-def: $vgpr60
                                        ; implicit-def: $vgpr61
                                        ; implicit-def: $vgpr62
                                        ; implicit-def: $vgpr63
                                        ; implicit-def: $vgpr64
                                        ; implicit-def: $vgpr65
	s_waitcnt lgkmcnt(0)
	v_cmp_gt_u64_e32 vcc, s[0:1], v[3:4]
	v_cmp_le_u64_e64 s[0:1], s[0:1], v[3:4]
	s_and_saveexec_b64 s[6:7], s[0:1]
	s_xor_b64 s[0:1], exec, s[6:7]
	s_cbranch_execz .LBB0_11
; %bb.10:
	s_mov_b32 s6, 0x4924925
	v_mul_hi_u32 v5, v0, s6
	s_mov_b32 s18, 0
                                        ; implicit-def: $vgpr19_vgpr20
	v_mul_u32_u24_e32 v5, 56, v5
	v_sub_u32_e32 v56, v0, v5
	v_add_u32_e32 v57, 56, v56
	v_add_u32_e32 v58, 0x70, v56
	;; [unrolled: 1-line block ×7, first 2 shown]
	v_or_b32_e32 v64, 0x1c0, v56
	v_add_u32_e32 v65, 0x1f8, v56
                                        ; implicit-def: $vgpr0
.LBB0_11:
	s_or_saveexec_b64 s[6:7], s[0:1]
	s_load_dwordx2 s[4:5], s[4:5], 0x0
	v_mov_b32_e32 v25, s18
	v_mov_b32_e32 v24, s18
                                        ; implicit-def: $vgpr6
                                        ; implicit-def: $vgpr8
                                        ; implicit-def: $vgpr10
                                        ; implicit-def: $vgpr12
                                        ; implicit-def: $vgpr14
                                        ; implicit-def: $vgpr16
                                        ; implicit-def: $vgpr18
                                        ; implicit-def: $vgpr21
                                        ; implicit-def: $vgpr23
                                        ; implicit-def: $vgpr29
                                        ; implicit-def: $vgpr27
                                        ; implicit-def: $vgpr31
                                        ; implicit-def: $vgpr46
                                        ; implicit-def: $vgpr44
                                        ; implicit-def: $vgpr48
                                        ; implicit-def: $vgpr55
                                        ; implicit-def: $vgpr52
                                        ; implicit-def: $vgpr50
                                        ; implicit-def: $vgpr36
                                        ; implicit-def: $vgpr38
                                        ; implicit-def: $vgpr41
	s_xor_b64 exec, exec, s[6:7]
	s_cbranch_execz .LBB0_15
; %bb.12:
	s_add_u32 s0, s16, s14
	s_mov_b32 s14, 0x4924925
	v_mul_hi_u32 v5, v0, s14
	s_addc_u32 s1, s17, s15
	s_load_dwordx2 s[0:1], s[0:1], 0x0
	v_mul_u32_u24_e32 v5, 56, v5
	v_sub_u32_e32 v56, v0, v5
	v_mad_u64_u32 v[5:6], s[14:15], s20, v56, 0
	s_waitcnt lgkmcnt(0)
	v_mul_lo_u32 v11, s1, v3
	v_mul_lo_u32 v12, s0, v4
	v_mad_u64_u32 v[7:8], s[0:1], s0, v3, 0
	v_mov_b32_e32 v0, v6
	v_mad_u64_u32 v[9:10], s[0:1], s21, v56, v[0:1]
	v_add3_u32 v8, v8, v12, v11
	v_lshlrev_b64 v[7:8], 3, v[7:8]
	v_mov_b32_e32 v0, s9
	v_add_co_u32_e64 v11, s[0:1], s8, v7
	v_add_u32_e32 v13, 0x24c, v56
	v_mov_b32_e32 v6, v9
	v_addc_co_u32_e64 v12, s[0:1], v0, v8, s[0:1]
	v_mad_u64_u32 v[9:10], s[0:1], s20, v13, 0
	v_lshlrev_b64 v[7:8], 3, v[19:20]
	v_add_u32_e32 v57, 56, v56
	v_add_co_u32_e64 v0, s[0:1], v11, v7
	v_mov_b32_e32 v7, v10
	v_addc_co_u32_e64 v19, s[0:1], v12, v8, s[0:1]
	v_mad_u64_u32 v[7:8], s[0:1], s21, v13, v[7:8]
	v_mad_u64_u32 v[11:12], s[0:1], s20, v57, 0
	v_lshlrev_b64 v[5:6], 3, v[5:6]
	v_mov_b32_e32 v10, v7
	v_add_co_u32_e64 v24, s[0:1], v0, v5
	v_mov_b32_e32 v7, v12
	v_addc_co_u32_e64 v25, s[0:1], v19, v6, s[0:1]
	v_lshlrev_b64 v[5:6], 3, v[9:10]
	v_mad_u64_u32 v[7:8], s[0:1], s21, v57, v[7:8]
	v_add_u32_e32 v10, 0x284, v56
	v_mad_u64_u32 v[8:9], s[0:1], s20, v10, 0
	v_add_co_u32_e64 v32, s[0:1], v0, v5
	v_mov_b32_e32 v12, v7
	v_mov_b32_e32 v7, v9
	v_addc_co_u32_e64 v33, s[0:1], v19, v6, s[0:1]
	v_mad_u64_u32 v[9:10], s[0:1], s21, v10, v[7:8]
	v_add_u32_e32 v58, 0x70, v56
	v_lshlrev_b64 v[5:6], 3, v[11:12]
	v_mad_u64_u32 v[10:11], s[0:1], s20, v58, 0
	v_add_co_u32_e64 v42, s[0:1], v0, v5
	v_mov_b32_e32 v7, v11
	v_addc_co_u32_e64 v43, s[0:1], v19, v6, s[0:1]
	v_lshlrev_b64 v[5:6], 3, v[8:9]
	v_mad_u64_u32 v[7:8], s[0:1], s21, v58, v[7:8]
	v_add_u32_e32 v12, 0x2bc, v56
	v_mad_u64_u32 v[8:9], s[0:1], s20, v12, 0
	v_add_co_u32_e64 v44, s[0:1], v0, v5
	v_mov_b32_e32 v11, v7
	v_mov_b32_e32 v7, v9
	v_addc_co_u32_e64 v45, s[0:1], v19, v6, s[0:1]
	v_lshlrev_b64 v[5:6], 3, v[10:11]
	v_mad_u64_u32 v[9:10], s[0:1], s21, v12, v[7:8]
	v_add_u32_e32 v59, 0xa8, v56
	v_mad_u64_u32 v[10:11], s[0:1], s20, v59, 0
	v_add_co_u32_e64 v46, s[0:1], v0, v5
	v_mov_b32_e32 v7, v11
	v_addc_co_u32_e64 v47, s[0:1], v19, v6, s[0:1]
	v_lshlrev_b64 v[5:6], 3, v[8:9]
	v_mad_u64_u32 v[7:8], s[0:1], s21, v59, v[7:8]
	v_add_u32_e32 v12, 0x2f4, v56
	v_mad_u64_u32 v[8:9], s[0:1], s20, v12, 0
	v_add_co_u32_e64 v48, s[0:1], v0, v5
	v_mov_b32_e32 v11, v7
	v_mov_b32_e32 v7, v9
	v_addc_co_u32_e64 v49, s[0:1], v19, v6, s[0:1]
	v_lshlrev_b64 v[5:6], 3, v[10:11]
	v_mad_u64_u32 v[9:10], s[0:1], s21, v12, v[7:8]
	v_add_u32_e32 v60, 0xe0, v56
	;; [unrolled: 15-line block ×5, first 2 shown]
	v_mad_u64_u32 v[10:11], s[0:1], s20, v63, 0
	v_add_co_u32_e64 v72, s[0:1], v0, v5
	v_mov_b32_e32 v7, v11
	v_addc_co_u32_e64 v73, s[0:1], v19, v6, s[0:1]
	v_lshlrev_b64 v[5:6], 3, v[8:9]
	v_mad_u64_u32 v[7:8], s[0:1], s21, v63, v[7:8]
	v_add_u32_e32 v12, 0x3d4, v56
	v_mad_u64_u32 v[8:9], s[0:1], s20, v12, 0
	v_add_co_u32_e64 v74, s[0:1], v0, v5
	v_mov_b32_e32 v11, v7
	v_mov_b32_e32 v7, v9
	v_addc_co_u32_e64 v75, s[0:1], v19, v6, s[0:1]
	v_lshlrev_b64 v[5:6], 3, v[10:11]
	v_mad_u64_u32 v[9:10], s[0:1], s21, v12, v[7:8]
	v_or_b32_e32 v64, 0x1c0, v56
	v_mad_u64_u32 v[10:11], s[0:1], s20, v64, 0
	v_add_co_u32_e64 v76, s[0:1], v0, v5
	v_mov_b32_e32 v7, v11
	v_addc_co_u32_e64 v77, s[0:1], v19, v6, s[0:1]
	v_lshlrev_b64 v[5:6], 3, v[8:9]
	v_mad_u64_u32 v[7:8], s[0:1], s21, v64, v[7:8]
	v_add_u32_e32 v12, 0x40c, v56
	v_mad_u64_u32 v[8:9], s[0:1], s20, v12, 0
	v_add_co_u32_e64 v78, s[0:1], v0, v5
	v_mov_b32_e32 v11, v7
	v_mov_b32_e32 v7, v9
	v_addc_co_u32_e64 v79, s[0:1], v19, v6, s[0:1]
	v_lshlrev_b64 v[5:6], 3, v[10:11]
	v_mad_u64_u32 v[9:10], s[0:1], s21, v12, v[7:8]
	v_add_u32_e32 v65, 0x1f8, v56
	v_mad_u64_u32 v[10:11], s[0:1], s20, v65, 0
	v_add_co_u32_e64 v80, s[0:1], v0, v5
	v_mov_b32_e32 v7, v11
	v_addc_co_u32_e64 v81, s[0:1], v19, v6, s[0:1]
	v_lshlrev_b64 v[5:6], 3, v[8:9]
	v_mad_u64_u32 v[7:8], s[0:1], s21, v65, v[7:8]
	v_add_u32_e32 v12, 0x444, v56
	v_mad_u64_u32 v[8:9], s[0:1], s20, v12, 0
	v_add_co_u32_e64 v82, s[0:1], v0, v5
	v_mov_b32_e32 v11, v7
	v_mov_b32_e32 v7, v9
	v_addc_co_u32_e64 v83, s[0:1], v19, v6, s[0:1]
	v_lshlrev_b64 v[5:6], 3, v[10:11]
	v_mad_u64_u32 v[9:10], s[0:1], s21, v12, v[7:8]
	v_add_co_u32_e64 v84, s[0:1], v0, v5
	v_addc_co_u32_e64 v85, s[0:1], v19, v6, s[0:1]
	v_lshlrev_b64 v[5:6], 3, v[8:9]
	v_add_co_u32_e64 v86, s[0:1], v0, v5
	v_addc_co_u32_e64 v87, s[0:1], v19, v6, s[0:1]
	global_load_dwordx2 v[5:6], v[24:25], off
	global_load_dwordx2 v[7:8], v[32:33], off
	;; [unrolled: 1-line block ×15, first 2 shown]
                                        ; kill: killed $vgpr50 killed $vgpr51
                                        ; kill: killed $vgpr76 killed $vgpr77
                                        ; kill: killed $vgpr44 killed $vgpr45
                                        ; kill: killed $vgpr70 killed $vgpr71
                                        ; kill: killed $vgpr24 killed $vgpr25
                                        ; kill: killed $vgpr46 killed $vgpr47
                                        ; kill: killed $vgpr72 killed $vgpr73
                                        ; kill: killed $vgpr66 killed $vgpr67
                                        ; kill: killed $vgpr42 killed $vgpr43
                                        ; kill: killed $vgpr68 killed $vgpr69
                                        ; kill: killed $vgpr52 killed $vgpr53
                                        ; kill: killed $vgpr32 killed $vgpr33
                                        ; kill: killed $vgpr54 killed $vgpr55
                                        ; kill: killed $vgpr48 killed $vgpr49
                                        ; kill: killed $vgpr74 killed $vgpr75
	global_load_dwordx2 v[45:46], v[78:79], off
	global_load_dwordx2 v[43:44], v[80:81], off
	;; [unrolled: 1-line block ×5, first 2 shown]
	v_cmp_gt_u32_e64 s[0:1], 28, v56
	v_mov_b32_e32 v24, 0
	v_mov_b32_e32 v25, 0
                                        ; implicit-def: $vgpr54
	s_and_saveexec_b64 s[8:9], s[0:1]
	s_cbranch_execz .LBB0_14
; %bb.13:
	v_add_u32_e32 v34, 0x230, v56
	v_mad_u64_u32 v[24:25], s[0:1], s20, v34, 0
	v_add_u32_e32 v39, 0x47c, v56
	v_mad_u64_u32 v[32:33], s[0:1], s20, v39, 0
	s_waitcnt vmcnt(7)
	v_mad_u64_u32 v[53:54], s[0:1], s21, v34, v[25:26]
	v_mad_u64_u32 v[33:34], s[0:1], s21, v39, v[33:34]
	v_mov_b32_e32 v25, v53
	v_lshlrev_b64 v[24:25], 3, v[24:25]
	v_add_co_u32_e64 v66, s[0:1], v0, v24
	v_addc_co_u32_e64 v67, s[0:1], v19, v25, s[0:1]
	v_lshlrev_b64 v[24:25], 3, v[32:33]
	v_add_co_u32_e64 v32, s[0:1], v0, v24
	v_addc_co_u32_e64 v33, s[0:1], v19, v25, s[0:1]
	global_load_dwordx2 v[24:25], v[66:67], off
	global_load_dwordx2 v[54:55], v[32:33], off
.LBB0_14:
	s_or_b64 exec, exec, s[8:9]
.LBB0_15:
	s_or_b64 exec, exec, s[6:7]
	s_waitcnt vmcnt(18)
	v_sub_f32_e32 v33, v5, v7
	v_fma_f32 v32, v5, 2.0, -v33
	v_lshl_add_u32 v77, v56, 3, 0
	s_waitcnt vmcnt(16)
	v_sub_f32_e32 v40, v9, v40
	ds_write_b64 v77, v[32:33]
	s_waitcnt vmcnt(14)
	v_sub_f32_e32 v33, v11, v37
	v_fma_f32 v39, v9, 2.0, -v40
	v_fma_f32 v32, v11, 2.0, -v33
	v_lshl_add_u32 v78, v57, 3, 0
	v_lshl_add_u32 v66, v58, 3, 0
	ds_write_b64 v78, v[39:40]
	ds_write_b64 v66, v[32:33]
	s_waitcnt vmcnt(12)
	v_sub_f32_e32 v33, v13, v15
	s_waitcnt vmcnt(10)
	v_sub_f32_e32 v20, v17, v20
	v_fma_f32 v32, v13, 2.0, -v33
	v_lshl_add_u32 v69, v59, 3, 0
	v_fma_f32 v19, v17, 2.0, -v20
	v_lshl_add_u32 v74, v60, 3, 0
	ds_write_b64 v69, v[32:33]
	ds_write_b64 v74, v[19:20]
	s_waitcnt vmcnt(8)
	v_sub_f32_e32 v20, v22, v28
	v_fma_f32 v19, v22, 2.0, -v20
	v_lshl_add_u32 v28, v61, 3, 0
	ds_write_b64 v28, v[19:20]
	s_waitcnt vmcnt(6)
	v_sub_f32_e32 v20, v26, v35
	v_fma_f32 v19, v26, 2.0, -v20
	v_lshl_add_u32 v26, v62, 3, 0
	ds_write_b64 v26, v[19:20]
	s_waitcnt vmcnt(4)
	v_sub_f32_e32 v20, v30, v45
	v_fma_f32 v19, v30, 2.0, -v20
	v_lshl_add_u32 v75, v63, 3, 0
	ds_write_b64 v75, v[19:20]
	s_waitcnt vmcnt(2)
	v_sub_f32_e32 v20, v43, v49
	v_fma_f32 v19, v43, 2.0, -v20
	v_lshl_add_u32 v30, v64, 3, 0
	ds_write_b64 v30, v[19:20]
	s_waitcnt vmcnt(0)
	v_sub_f32_e32 v20, v47, v51
	v_fma_f32 v19, v47, 2.0, -v20
	v_lshl_add_u32 v76, v65, 3, 0
	ds_write_b64 v76, v[19:20]
	v_sub_f32_e32 v20, v24, v54
	v_add_u32_e32 v7, 0x230, v56
	v_fma_f32 v19, v24, 2.0, -v20
	v_cmp_gt_u32_e64 s[0:1], 28, v56
	v_lshl_add_u32 v17, v7, 3, 0
	s_and_saveexec_b64 s[6:7], s[0:1]
	s_cbranch_execz .LBB0_17
; %bb.16:
	ds_write_b64 v17, v[19:20]
.LBB0_17:
	s_or_b64 exec, exec, s[6:7]
	v_lshl_add_u32 v0, v56, 2, 0
	v_add_u32_e32 v9, 0x800, v0
	v_lshlrev_b32_e32 v5, 2, v58
	v_lshlrev_b32_e32 v24, 2, v59
	;; [unrolled: 1-line block ×3, first 2 shown]
	s_waitcnt lgkmcnt(0)
	; wave barrier
	s_waitcnt lgkmcnt(0)
	ds_read2_b32 v[32:33], v9 offset0:76 offset1:132
	v_sub_u32_e32 v13, v66, v5
	ds_read2_b32 v[34:35], v9 offset0:188 offset1:244
	v_sub_u32_e32 v15, v69, v24
	v_lshlrev_b32_e32 v45, 2, v60
	v_add_u32_e32 v9, 0xc00, v0
	v_lshlrev_b32_e32 v47, 2, v61
	v_lshlrev_b32_e32 v49, 2, v62
	v_sub_u32_e32 v71, v75, v51
	v_lshl_add_u32 v37, v57, 2, 0
	v_sub_u32_e32 v22, v74, v45
	ds_read2_b32 v[39:40], v9 offset0:44 offset1:100
	v_sub_u32_e32 v53, v28, v47
	v_sub_u32_e32 v54, v26, v49
	ds_read2_b32 v[42:43], v9 offset0:156 offset1:212
	ds_read_b32 v9, v0
	ds_read_b32 v11, v37
	;; [unrolled: 1-line block ×8, first 2 shown]
	v_lshlrev_b32_e32 v79, 2, v64
	v_lshlrev_b32_e32 v84, 2, v65
	v_sub_u32_e32 v22, v30, v79
	v_add_u32_e32 v53, 0x1000, v0
	v_sub_u32_e32 v73, v76, v84
	ds_read2_b32 v[53:54], v53 offset0:12 offset1:68
	ds_read_b32 v72, v22
	ds_read_b32 v73, v73
	s_and_saveexec_b64 s[6:7], s[0:1]
	s_cbranch_execz .LBB0_19
; %bb.18:
	ds_read_b32 v19, v0 offset:2240
	ds_read_b32 v20, v0 offset:4592
.LBB0_19:
	s_or_b64 exec, exec, s[6:7]
	v_sub_f32_e32 v85, v6, v8
	v_sub_u32_e32 v81, 0, v79
	v_sub_u32_e32 v79, 0, v84
	v_fma_f32 v84, v6, 2.0, -v85
	v_sub_f32_e32 v6, v25, v55
	v_sub_u32_e32 v22, 0, v5
	v_sub_u32_e32 v83, 0, v24
	v_sub_u32_e32 v24, 0, v45
	v_sub_u32_e32 v45, 0, v47
	v_sub_u32_e32 v82, 0, v49
	v_sub_u32_e32 v80, 0, v51
	v_sub_f32_e32 v87, v10, v41
	v_sub_f32_e32 v89, v12, v38
	;; [unrolled: 1-line block ×9, first 2 shown]
	v_fma_f32 v5, v25, 2.0, -v6
	v_fma_f32 v86, v10, 2.0, -v87
	v_fma_f32 v88, v12, 2.0, -v89
	v_fma_f32 v90, v14, 2.0, -v91
	v_fma_f32 v92, v18, 2.0, -v93
	v_fma_f32 v94, v23, 2.0, -v95
	v_fma_f32 v96, v27, 2.0, -v97
	v_fma_f32 v46, v31, 2.0, -v47
	v_fma_f32 v49, v44, 2.0, -v50
	v_fma_f32 v51, v48, 2.0, -v52
	s_waitcnt lgkmcnt(0)
	; wave barrier
	s_waitcnt lgkmcnt(0)
	ds_write_b64 v77, v[84:85]
	ds_write_b64 v78, v[86:87]
	;; [unrolled: 1-line block ×10, first 2 shown]
	s_and_saveexec_b64 s[6:7], s[0:1]
	s_cbranch_execz .LBB0_21
; %bb.20:
	ds_write_b64 v17, v[5:6]
.LBB0_21:
	s_or_b64 exec, exec, s[6:7]
	v_add_u32_e32 v8, 0x800, v0
	s_waitcnt lgkmcnt(0)
	; wave barrier
	s_waitcnt lgkmcnt(0)
	ds_read2_b32 v[17:18], v8 offset0:76 offset1:132
	v_add_u32_e32 v36, v66, v22
	ds_read2_b32 v[21:22], v8 offset0:188 offset1:244
	v_add_u32_e32 v8, 0xc00, v0
	v_add_u32_e32 v41, v69, v83
	;; [unrolled: 1-line block ×3, first 2 shown]
	ds_read2_b32 v[23:24], v8 offset0:44 offset1:100
	v_add_u32_e32 v45, v28, v45
	v_add_u32_e32 v38, v26, v82
	ds_read2_b32 v[25:26], v8 offset0:156 offset1:212
	v_add_u32_e32 v46, v75, v80
	ds_read_b32 v84, v0
	ds_read_b32 v83, v37
	;; [unrolled: 1-line block ×8, first 2 shown]
	v_add_u32_e32 v69, v30, v81
	v_add_u32_e32 v8, 0x1000, v0
	ds_read2_b32 v[27:28], v8 offset0:12 offset1:68
	v_add_u32_e32 v44, v76, v79
	ds_read_b32 v81, v69
	ds_read_b32 v79, v44
	v_lshlrev_b32_e32 v47, 1, v56
	v_lshlrev_b32_e32 v48, 1, v57
	;; [unrolled: 1-line block ×10, first 2 shown]
	s_and_saveexec_b64 s[6:7], s[0:1]
	s_cbranch_execz .LBB0_23
; %bb.22:
	ds_read_b32 v5, v0 offset:2240
	ds_read_b32 v6, v0 offset:4592
.LBB0_23:
	s_or_b64 exec, exec, s[6:7]
	v_and_b32_e32 v76, 1, v56
	v_lshlrev_b32_e32 v8, 3, v76
	global_load_dwordx2 v[29:30], v8, s[12:13]
	s_movk_i32 s6, 0x7c
	s_movk_i32 s9, 0x3fc
	;; [unrolled: 1-line block ×6, first 2 shown]
	v_and_or_b32 v8, v47, s6, v76
	v_and_or_b32 v16, v51, s9, v76
	;; [unrolled: 1-line block ×10, first 2 shown]
	v_lshl_add_u32 v91, v8, 2, 0
	v_lshl_add_u32 v95, v16, 2, 0
	;; [unrolled: 1-line block ×10, first 2 shown]
	s_waitcnt lgkmcnt(0)
	; wave barrier
	s_waitcnt vmcnt(0) lgkmcnt(0)
	v_mul_f32_e32 v8, v17, v30
	v_mul_f32_e32 v16, v23, v30
	;; [unrolled: 1-line block ×11, first 2 shown]
	v_fmac_f32_e32 v8, v32, v29
	v_fmac_f32_e32 v16, v39, v29
	v_fmac_f32_e32 v10, v33, v29
	v_fmac_f32_e32 v12, v34, v29
	v_fmac_f32_e32 v14, v35, v29
	v_fmac_f32_e32 v66, v40, v29
	v_fmac_f32_e32 v85, v42, v29
	v_fmac_f32_e32 v86, v43, v29
	v_fmac_f32_e32 v87, v53, v29
	v_fmac_f32_e32 v88, v54, v29
	v_fmac_f32_e32 v89, v20, v29
	v_sub_f32_e32 v8, v9, v8
	v_sub_f32_e32 v16, v67, v16
	v_sub_f32_e32 v10, v11, v10
	v_sub_f32_e32 v12, v13, v12
	v_sub_f32_e32 v14, v15, v14
	v_sub_f32_e32 v90, v68, v66
	v_sub_f32_e32 v85, v70, v85
	v_sub_f32_e32 v86, v71, v86
	v_sub_f32_e32 v87, v72, v87
	v_sub_f32_e32 v88, v73, v88
	v_sub_f32_e32 v66, v19, v89
	v_fma_f32 v9, v9, 2.0, -v8
	v_fma_f32 v67, v67, 2.0, -v16
	;; [unrolled: 1-line block ×11, first 2 shown]
	ds_write2_b32 v91, v9, v8 offset1:2
	ds_write2_b32 v92, v11, v10 offset1:2
	ds_write2_b32 v93, v13, v12 offset1:2
	ds_write2_b32 v94, v15, v14 offset1:2
	ds_write2_b32 v95, v67, v16 offset1:2
	ds_write2_b32 v96, v89, v90 offset1:2
	ds_write2_b32 v97, v70, v85 offset1:2
	ds_write2_b32 v98, v71, v86 offset1:2
	ds_write2_b32 v99, v72, v87 offset1:2
	ds_write2_b32 v100, v73, v88 offset1:2
	v_lshlrev_b32_e32 v67, 1, v7
	s_and_saveexec_b64 s[6:7], s[0:1]
	s_cbranch_execz .LBB0_25
; %bb.24:
	s_movk_i32 s8, 0x4fc
	v_and_or_b32 v7, v67, s8, v76
	v_lshl_add_u32 v7, v7, 2, 0
	ds_write2_b32 v7, v68, v66 offset1:2
.LBB0_25:
	s_or_b64 exec, exec, s[6:7]
	v_add_u32_e32 v7, 0x800, v0
	s_waitcnt lgkmcnt(0)
	; wave barrier
	s_waitcnt lgkmcnt(0)
	ds_read2_b32 v[13:14], v7 offset0:76 offset1:132
	ds_read2_b32 v[9:10], v7 offset0:188 offset1:244
	v_add_u32_e32 v7, 0xc00, v0
	ds_read2_b32 v[11:12], v7 offset0:44 offset1:100
	ds_read2_b32 v[7:8], v7 offset0:156 offset1:212
	ds_read_b32 v70, v0
	ds_read_b32 v71, v37
	;; [unrolled: 1-line block ×8, first 2 shown]
	v_add_u32_e32 v15, 0x1000, v0
	ds_read2_b32 v[15:16], v15 offset0:12 offset1:68
	ds_read_b32 v89, v69
	ds_read_b32 v90, v44
	s_and_saveexec_b64 s[6:7], s[0:1]
	s_cbranch_execz .LBB0_27
; %bb.26:
	ds_read_b32 v68, v0 offset:2240
	ds_read_b32 v66, v0 offset:4592
.LBB0_27:
	s_or_b64 exec, exec, s[6:7]
	v_mul_f32_e32 v19, v32, v30
	v_fma_f32 v17, v17, v29, -v19
	v_mul_f32_e32 v19, v33, v30
	v_fma_f32 v18, v18, v29, -v19
	;; [unrolled: 2-line block ×8, first 2 shown]
	v_mul_f32_e32 v26, v53, v30
	v_mul_f32_e32 v20, v20, v30
	v_fma_f32 v26, v27, v29, -v26
	v_mul_f32_e32 v27, v54, v30
	v_fma_f32 v6, v6, v29, -v20
	v_fma_f32 v27, v28, v29, -v27
	v_sub_f32_e32 v17, v84, v17
	v_sub_f32_e32 v34, v5, v6
	v_fma_f32 v20, v84, 2.0, -v17
	v_sub_f32_e32 v18, v83, v18
	v_sub_f32_e32 v19, v82, v19
	;; [unrolled: 1-line block ×9, first 2 shown]
	v_fma_f32 v33, v5, 2.0, -v34
	v_fma_f32 v28, v83, 2.0, -v18
	;; [unrolled: 1-line block ×10, first 2 shown]
	s_waitcnt lgkmcnt(0)
	; wave barrier
	s_waitcnt lgkmcnt(0)
	ds_write2_b32 v91, v20, v17 offset1:2
	ds_write2_b32 v92, v28, v18 offset1:2
	;; [unrolled: 1-line block ×10, first 2 shown]
	s_and_saveexec_b64 s[6:7], s[0:1]
	s_cbranch_execz .LBB0_29
; %bb.28:
	s_movk_i32 s8, 0x4fc
	v_and_or_b32 v5, v67, s8, v76
	v_lshl_add_u32 v5, v5, 2, 0
	ds_write2_b32 v5, v33, v34 offset1:2
.LBB0_29:
	s_or_b64 exec, exec, s[6:7]
	v_add_u32_e32 v5, 0x800, v0
	s_waitcnt lgkmcnt(0)
	; wave barrier
	s_waitcnt lgkmcnt(0)
	ds_read2_b32 v[23:24], v5 offset0:76 offset1:132
	ds_read2_b32 v[19:20], v5 offset0:188 offset1:244
	v_add_u32_e32 v5, 0xc00, v0
	ds_read2_b32 v[21:22], v5 offset0:44 offset1:100
	ds_read2_b32 v[5:6], v5 offset0:156 offset1:212
	ds_read_b32 v53, v0
	ds_read_b32 v43, v37
	;; [unrolled: 1-line block ×8, first 2 shown]
	v_add_u32_e32 v17, 0x1000, v0
	ds_read2_b32 v[25:26], v17 offset0:12 offset1:68
	ds_read_b32 v32, v69
	ds_read_b32 v29, v44
	s_and_saveexec_b64 s[6:7], s[0:1]
	s_cbranch_execz .LBB0_31
; %bb.30:
	ds_read_b32 v33, v0 offset:2240
	ds_read_b32 v34, v0 offset:4592
.LBB0_31:
	s_or_b64 exec, exec, s[6:7]
	v_and_b32_e32 v35, 3, v56
	v_lshlrev_b32_e32 v17, 3, v35
	global_load_dwordx2 v[17:18], v17, s[12:13] offset:16
	s_movk_i32 s9, 0x3f8
	s_movk_i32 s15, 0x7f8
	v_and_or_b32 v54, v55, s9, v35
	v_and_or_b32 v55, v63, s9, v35
	v_and_or_b32 v63, v64, s9, v35
	v_and_or_b32 v64, v65, s15, v35
	s_movk_i32 s6, 0x78
	s_movk_i32 s7, 0xf8
	;; [unrolled: 1-line block ×4, first 2 shown]
	v_and_or_b32 v47, v47, s6, v35
	v_and_or_b32 v48, v48, s7, v35
	;; [unrolled: 1-line block ×6, first 2 shown]
	v_lshl_add_u32 v47, v47, 2, 0
	v_lshl_add_u32 v48, v48, 2, 0
	;; [unrolled: 1-line block ×10, first 2 shown]
	s_waitcnt lgkmcnt(0)
	; wave barrier
	s_waitcnt vmcnt(0) lgkmcnt(0)
	v_mul_f32_e32 v65, v23, v18
	v_mul_f32_e32 v69, v24, v18
	;; [unrolled: 1-line block ×10, first 2 shown]
	v_fmac_f32_e32 v65, v13, v17
	v_fmac_f32_e32 v69, v14, v17
	;; [unrolled: 1-line block ×10, first 2 shown]
	v_sub_f32_e32 v65, v70, v65
	v_sub_f32_e32 v69, v71, v69
	;; [unrolled: 1-line block ×10, first 2 shown]
	v_fma_f32 v70, v70, 2.0, -v65
	v_fma_f32 v71, v71, 2.0, -v69
	;; [unrolled: 1-line block ×10, first 2 shown]
	ds_write2_b32 v47, v70, v65 offset1:4
	ds_write2_b32 v48, v71, v69 offset1:4
	;; [unrolled: 1-line block ×10, first 2 shown]
	s_and_saveexec_b64 s[6:7], s[0:1]
	s_cbranch_execz .LBB0_33
; %bb.32:
	v_mul_f32_e32 v69, v34, v18
	s_movk_i32 s8, 0x4f8
	v_fmac_f32_e32 v69, v66, v17
	v_and_or_b32 v65, v67, s8, v35
	v_sub_f32_e32 v69, v68, v69
	v_lshl_add_u32 v65, v65, 2, 0
	v_fma_f32 v68, v68, 2.0, -v69
	ds_write2_b32 v65, v68, v69 offset1:4
.LBB0_33:
	s_or_b64 exec, exec, s[6:7]
	v_mul_f32_e32 v7, v7, v18
	v_fma_f32 v5, v5, v17, -v7
	v_mul_f32_e32 v7, v8, v18
	v_mul_f32_e32 v12, v12, v18
	v_fma_f32 v6, v6, v17, -v7
	v_mul_f32_e32 v7, v15, v18
	v_mul_f32_e32 v8, v16, v18
	;; [unrolled: 1-line block ×7, first 2 shown]
	v_fma_f32 v12, v22, v17, -v12
	v_fma_f32 v7, v25, v17, -v7
	;; [unrolled: 1-line block ×8, first 2 shown]
	v_sub_f32_e32 v73, v30, v12
	v_sub_f32_e32 v75, v28, v5
	;; [unrolled: 1-line block ×4, first 2 shown]
	v_add_u32_e32 v21, 0xa00, v0
	v_add_u32_e32 v23, 0xc00, v0
	;; [unrolled: 1-line block ×4, first 2 shown]
	v_sub_f32_e32 v69, v42, v9
	v_sub_f32_e32 v70, v40, v10
	;; [unrolled: 1-line block ×3, first 2 shown]
	v_fma_f32 v74, v30, 2.0, -v73
	v_fma_f32 v76, v28, 2.0, -v75
	v_sub_f32_e32 v77, v27, v6
	v_fma_f32 v80, v32, 2.0, -v79
	v_fma_f32 v82, v29, 2.0, -v81
	s_waitcnt lgkmcnt(0)
	; wave barrier
	s_waitcnt lgkmcnt(0)
	ds_read2st64_b32 v[5:6], v0 offset1:7
	ds_read2_b32 v[7:8], v21 offset0:88 offset1:144
	ds_read2_b32 v[15:16], v23 offset0:72 offset1:128
	;; [unrolled: 1-line block ×5, first 2 shown]
	ds_read_b32 v32, v37
	ds_read_b32 v30, v36
	;; [unrolled: 1-line block ×5, first 2 shown]
	v_add_u32_e32 v25, 0x1000, v0
	v_sub_f32_e32 v65, v53, v13
	v_sub_f32_e32 v68, v43, v14
	v_fma_f32 v72, v39, 2.0, -v71
	v_fma_f32 v78, v27, 2.0, -v77
	ds_read2_b32 v[13:14], v25 offset0:40 offset1:96
	ds_read_b32 v39, v46
	ds_read_b32 v27, v38
	v_fma_f32 v53, v53, 2.0, -v65
	v_fma_f32 v43, v43, 2.0, -v68
	;; [unrolled: 1-line block ×4, first 2 shown]
	s_waitcnt lgkmcnt(0)
	; wave barrier
	s_waitcnt lgkmcnt(0)
	ds_write2_b32 v47, v53, v65 offset1:4
	ds_write2_b32 v48, v43, v68 offset1:4
	;; [unrolled: 1-line block ×10, first 2 shown]
	s_and_saveexec_b64 s[6:7], s[0:1]
	s_cbranch_execz .LBB0_35
; %bb.34:
	v_mul_f32_e32 v18, v66, v18
	v_fma_f32 v17, v34, v17, -v18
	v_sub_f32_e32 v17, v33, v17
	s_movk_i32 s0, 0x4f8
	v_fma_f32 v18, v33, 2.0, -v17
	v_and_or_b32 v33, v67, s0, v35
	v_lshl_add_u32 v33, v33, 2, 0
	ds_write2_b32 v33, v18, v17 offset1:4
.LBB0_35:
	s_or_b64 exec, exec, s[6:7]
	v_and_b32_e32 v35, 7, v56
	v_lshlrev_b32_e32 v17, 4, v35
	s_waitcnt lgkmcnt(0)
	; wave barrier
	s_waitcnt lgkmcnt(0)
	global_load_dwordx4 v[47:50], v17, s[12:13] offset:48
	ds_read2st64_b32 v[17:18], v0 offset1:7
	ds_read_b32 v40, v46
	ds_read2_b32 v[33:34], v21 offset0:88 offset1:144
	ds_read2_b32 v[42:43], v23 offset0:72 offset1:128
	ds_read2_b32 v[51:52], v22 offset0:120 offset1:176
	ds_read2_b32 v[53:54], v23 offset0:184 offset1:240
	ds_read2_b32 v[63:64], v24 offset0:104 offset1:160
	ds_read_b32 v55, v37
	ds_read_b32 v65, v36
	;; [unrolled: 1-line block ×5, first 2 shown]
	ds_read2_b32 v[45:46], v25 offset0:40 offset1:96
	ds_read_b32 v74, v38
	s_waitcnt lgkmcnt(0)
	; wave barrier
	s_waitcnt lgkmcnt(0)
	s_movk_i32 s0, 0xab
	s_mov_b32 s1, 0x3f3bfb3b
	s_mov_b32 s6, 0xbf3bfb3b
	;; [unrolled: 1-line block ×3, first 2 shown]
	s_waitcnt vmcnt(0)
	v_mul_f32_e32 v67, v40, v48
	v_mul_f32_e32 v69, v34, v50
	;; [unrolled: 1-line block ×16, first 2 shown]
	v_fmac_f32_e32 v67, v39, v47
	v_fmac_f32_e32 v69, v8, v49
	v_mul_f32_e32 v75, v42, v50
	v_fma_f32 v39, v40, v47, -v68
	v_fma_f32 v8, v34, v49, -v70
	v_fmac_f32_e32 v93, v7, v47
	v_fma_f32 v7, v33, v47, -v48
	v_add_f32_e32 v33, v67, v69
	v_fmac_f32_e32 v71, v6, v47
	v_fmac_f32_e32 v75, v15, v49
	;; [unrolled: 1-line block ×3, first 2 shown]
	v_add_f32_e32 v20, v5, v67
	v_sub_f32_e32 v34, v39, v8
	v_add_f32_e32 v40, v17, v39
	v_add_f32_e32 v39, v39, v8
	v_fmac_f32_e32 v5, -0.5, v33
	v_mul_f32_e32 v76, v15, v50
	v_fmac_f32_e32 v17, -0.5, v39
	v_mov_b32_e32 v33, v5
	v_add_f32_e32 v39, v71, v75
	v_fma_f32 v6, v18, v47, -v72
	v_fma_f32 v15, v42, v49, -v76
	v_fmac_f32_e32 v5, 0x3f5db3d7, v34
	v_fmac_f32_e32 v33, 0xbf5db3d7, v34
	v_add_f32_e32 v34, v32, v71
	v_fmac_f32_e32 v32, -0.5, v39
	v_add_f32_e32 v8, v40, v8
	v_sub_f32_e32 v39, v6, v15
	v_mov_b32_e32 v40, v32
	v_mul_f32_e32 v79, v43, v50
	v_fmac_f32_e32 v40, 0xbf5db3d7, v39
	v_fmac_f32_e32 v32, 0x3f5db3d7, v39
	v_add_f32_e32 v39, v55, v6
	v_add_f32_e32 v6, v6, v15
	v_mul_f32_e32 v80, v16, v50
	v_mul_f32_e32 v83, v53, v50
	;; [unrolled: 1-line block ×9, first 2 shown]
	v_fmac_f32_e32 v77, v19, v47
	v_fmac_f32_e32 v79, v16, v49
	v_fmac_f32_e32 v55, -0.5, v6
	v_fmac_f32_e32 v94, v14, v49
	v_fma_f32 v14, v46, v49, -v50
	v_add_f32_e32 v46, v39, v15
	v_sub_f32_e32 v6, v71, v75
	v_mov_b32_e32 v15, v55
	v_add_f32_e32 v39, v77, v79
	v_fma_f32 v18, v51, v47, -v78
	v_fma_f32 v16, v43, v49, -v80
	v_fmac_f32_e32 v91, v13, v49
	v_fma_f32 v13, v45, v49, -v92
	v_sub_f32_e32 v42, v67, v69
	v_mov_b32_e32 v45, v17
	v_fmac_f32_e32 v15, 0x3f5db3d7, v6
	v_fmac_f32_e32 v55, 0xbf5db3d7, v6
	v_add_f32_e32 v6, v30, v77
	v_fmac_f32_e32 v30, -0.5, v39
	v_fmac_f32_e32 v45, 0x3f5db3d7, v42
	v_fmac_f32_e32 v17, 0xbf5db3d7, v42
	v_sub_f32_e32 v39, v18, v16
	v_mov_b32_e32 v42, v30
	v_fmac_f32_e32 v42, 0xbf5db3d7, v39
	v_fmac_f32_e32 v30, 0x3f5db3d7, v39
	v_add_f32_e32 v39, v65, v18
	v_fma_f32 v19, v52, v47, -v82
	v_fmac_f32_e32 v85, v11, v47
	v_fma_f32 v11, v63, v47, -v86
	v_fmac_f32_e32 v89, v12, v47
	v_fma_f32 v12, v64, v47, -v90
	v_add_f32_e32 v47, v39, v16
	v_add_f32_e32 v16, v18, v16
	v_fmac_f32_e32 v83, v9, v49
	v_fmac_f32_e32 v65, -0.5, v16
	v_sub_f32_e32 v16, v77, v79
	v_mov_b32_e32 v18, v65
	v_add_f32_e32 v39, v81, v83
	v_fma_f32 v9, v53, v49, -v84
	v_fmac_f32_e32 v18, 0x3f5db3d7, v16
	v_fmac_f32_e32 v65, 0xbf5db3d7, v16
	v_add_f32_e32 v16, v29, v81
	v_fmac_f32_e32 v29, -0.5, v39
	v_sub_f32_e32 v39, v19, v9
	v_mov_b32_e32 v43, v29
	v_fmac_f32_e32 v43, 0xbf5db3d7, v39
	v_fmac_f32_e32 v29, 0x3f5db3d7, v39
	v_add_f32_e32 v39, v66, v19
	v_add_f32_e32 v48, v39, v9
	;; [unrolled: 1-line block ×3, first 2 shown]
	v_fmac_f32_e32 v87, v10, v49
	v_fmac_f32_e32 v66, -0.5, v9
	v_sub_f32_e32 v9, v81, v83
	v_mov_b32_e32 v19, v66
	v_add_f32_e32 v39, v85, v87
	v_fma_f32 v10, v54, v49, -v88
	v_fmac_f32_e32 v19, 0x3f5db3d7, v9
	v_fmac_f32_e32 v66, 0xbf5db3d7, v9
	v_add_f32_e32 v9, v28, v85
	v_fmac_f32_e32 v28, -0.5, v39
	v_sub_f32_e32 v39, v11, v10
	v_mov_b32_e32 v49, v28
	v_fmac_f32_e32 v49, 0xbf5db3d7, v39
	v_fmac_f32_e32 v28, 0x3f5db3d7, v39
	v_add_f32_e32 v39, v31, v11
	v_add_f32_e32 v50, v39, v10
	;; [unrolled: 1-line block ×3, first 2 shown]
	v_fmac_f32_e32 v31, -0.5, v10
	v_sub_f32_e32 v10, v85, v87
	v_mov_b32_e32 v11, v31
	v_add_f32_e32 v39, v89, v91
	v_fmac_f32_e32 v11, 0x3f5db3d7, v10
	v_fmac_f32_e32 v31, 0xbf5db3d7, v10
	v_add_f32_e32 v10, v26, v89
	v_fmac_f32_e32 v26, -0.5, v39
	v_sub_f32_e32 v39, v12, v13
	v_mov_b32_e32 v51, v26
	v_fmac_f32_e32 v51, 0xbf5db3d7, v39
	v_fmac_f32_e32 v26, 0x3f5db3d7, v39
	v_add_f32_e32 v39, v73, v12
	v_add_f32_e32 v12, v12, v13
	v_fmac_f32_e32 v73, -0.5, v12
	v_add_f32_e32 v52, v39, v13
	v_sub_f32_e32 v12, v89, v91
	v_mov_b32_e32 v13, v73
	v_add_f32_e32 v39, v93, v94
	v_fmac_f32_e32 v13, 0x3f5db3d7, v12
	v_fmac_f32_e32 v73, 0xbf5db3d7, v12
	v_add_f32_e32 v12, v27, v93
	v_fmac_f32_e32 v27, -0.5, v39
	v_sub_f32_e32 v39, v7, v14
	v_mov_b32_e32 v53, v27
	v_fmac_f32_e32 v53, 0xbf5db3d7, v39
	v_fmac_f32_e32 v27, 0x3f5db3d7, v39
	v_add_f32_e32 v39, v74, v7
	v_add_f32_e32 v7, v7, v14
	v_fmac_f32_e32 v74, -0.5, v7
	v_add_f32_e32 v63, v39, v14
	v_sub_f32_e32 v7, v93, v94
	v_mov_b32_e32 v14, v74
	v_fmac_f32_e32 v14, 0x3f5db3d7, v7
	v_fmac_f32_e32 v74, 0xbf5db3d7, v7
	v_lshrrev_b32_e32 v7, 3, v56
	v_mul_u32_u24_e32 v7, 24, v7
	v_or_b32_e32 v7, v7, v35
	v_lshrrev_b32_e32 v39, 3, v57
	v_mul_lo_u32 v39, v39, 24
	v_lshl_add_u32 v64, v7, 2, 0
	v_lshrrev_b32_e32 v7, 3, v58
	v_mul_lo_u32 v7, v7, 24
	v_add_f32_e32 v20, v20, v69
	ds_write2_b32 v64, v20, v33 offset1:8
	ds_write_b32 v64, v5 offset:64
	v_or_b32_e32 v5, v39, v35
	v_add_f32_e32 v34, v34, v75
	v_lshl_add_u32 v20, v5, 2, 0
	v_or_b32_e32 v5, v7, v35
	v_add_f32_e32 v6, v6, v79
	ds_write2_b32 v20, v34, v40 offset1:8
	ds_write_b32 v20, v32 offset:64
	v_lshrrev_b32_e32 v7, 3, v59
	v_lshl_add_u32 v32, v5, 2, 0
	v_mul_lo_u32 v7, v7, 24
	ds_write2_b32 v32, v6, v42 offset1:8
	ds_write_b32 v32, v30 offset:64
	v_lshrrev_b32_e32 v6, 3, v60
	v_mul_lo_u32 v6, v6, 24
	v_or_b32_e32 v5, v7, v35
	v_lshl_add_u32 v30, v5, 2, 0
	v_add_f32_e32 v16, v16, v83
	v_or_b32_e32 v5, v6, v35
	v_lshrrev_b32_e32 v6, 3, v61
	v_mul_lo_u32 v6, v6, 24
	ds_write2_b32 v30, v16, v43 offset1:8
	ds_write_b32 v30, v29 offset:64
	v_lshl_add_u32 v16, v5, 2, 0
	v_add_f32_e32 v9, v9, v87
	v_or_b32_e32 v5, v6, v35
	v_lshrrev_b32_e32 v6, 3, v62
	v_mul_lo_u32 v6, v6, 24
	v_add_f32_e32 v10, v10, v91
	ds_write2_b32 v16, v9, v49 offset1:8
	ds_write_b32 v16, v28 offset:64
	v_lshl_add_u32 v9, v5, 2, 0
	v_or_b32_e32 v5, v6, v35
	v_add_f32_e32 v12, v12, v94
	ds_write2_b32 v9, v10, v51 offset1:8
	ds_write_b32 v9, v26 offset:64
	v_lshl_add_u32 v10, v5, 2, 0
	v_add_u32_e32 v7, 0x400, v0
	ds_write2_b32 v10, v12, v53 offset1:8
	ds_write_b32 v10, v27 offset:64
	s_waitcnt lgkmcnt(0)
	; wave barrier
	s_waitcnt lgkmcnt(0)
	ds_read2_b32 v[5:6], v0 offset1:224
	ds_read_b32 v89, v38
	ds_read_b32 v90, v44
	ds_read2_b32 v[34:35], v24 offset0:104 offset1:160
	ds_read2_b32 v[39:40], v23 offset0:72 offset1:128
	;; [unrolled: 1-line block ×3, first 2 shown]
	ds_read_b32 v91, v37
	ds_read2_b32 v[53:54], v7 offset0:24 offset1:136
	ds_read2_b32 v[67:68], v22 offset0:64 offset1:176
	ds_read2_b32 v[69:70], v21 offset0:88 offset1:144
	ds_read2_b32 v[71:72], v25 offset0:40 offset1:96
	ds_read_b32 v92, v41
	ds_read_b32 v93, v36
	s_waitcnt lgkmcnt(0)
	; wave barrier
	s_waitcnt lgkmcnt(0)
	ds_write2_b32 v64, v8, v45 offset1:8
	ds_write_b32 v64, v17 offset:64
	ds_write2_b32 v20, v46, v15 offset1:8
	ds_write_b32 v20, v55 offset:64
	;; [unrolled: 2-line block ×7, first 2 shown]
	v_mul_lo_u16_sdwa v8, v56, s0 dst_sel:DWORD dst_unused:UNUSED_PAD src0_sel:BYTE_0 src1_sel:DWORD
	v_lshrrev_b16_e32 v20, 12, v8
	v_mul_lo_u16_e32 v8, 24, v20
	v_sub_u16_e32 v55, v56, v8
	v_mov_b32_e32 v49, 6
	v_mul_u32_u24_sdwa v8, v55, v49 dst_sel:DWORD dst_unused:UNUSED_PAD src0_sel:BYTE_0 src1_sel:DWORD
	v_lshlrev_b32_e32 v26, 3, v8
	s_waitcnt lgkmcnt(0)
	; wave barrier
	s_waitcnt lgkmcnt(0)
	global_load_dwordx4 v[8:11], v26, s[12:13] offset:176
	global_load_dwordx4 v[12:15], v26, s[12:13] offset:192
	;; [unrolled: 1-line block ×3, first 2 shown]
	v_mul_lo_u16_sdwa v26, v57, s0 dst_sel:DWORD dst_unused:UNUSED_PAD src0_sel:BYTE_0 src1_sel:DWORD
	v_lshrrev_b16_e32 v94, 12, v26
	v_mul_lo_u16_e32 v26, 24, v94
	v_sub_u16_e32 v95, v57, v26
	v_mul_u32_u24_sdwa v26, v95, v49 dst_sel:DWORD dst_unused:UNUSED_PAD src0_sel:BYTE_0 src1_sel:DWORD
	v_lshlrev_b32_e32 v50, 3, v26
	global_load_dwordx4 v[26:29], v50, s[12:13] offset:176
	global_load_dwordx4 v[30:33], v50, s[12:13] offset:192
	;; [unrolled: 1-line block ×3, first 2 shown]
	v_mul_lo_u16_sdwa v50, v58, s0 dst_sel:DWORD dst_unused:UNUSED_PAD src0_sel:BYTE_0 src1_sel:DWORD
	v_lshrrev_b16_e32 v96, 12, v50
	v_mul_lo_u16_e32 v50, 24, v96
	v_sub_u16_e32 v97, v58, v50
	v_mul_u32_u24_sdwa v49, v97, v49 dst_sel:DWORD dst_unused:UNUSED_PAD src0_sel:BYTE_0 src1_sel:DWORD
	v_lshlrev_b32_e32 v73, 3, v49
	global_load_dwordx4 v[49:52], v73, s[12:13] offset:176
	global_load_dwordx4 v[59:62], v73, s[12:13] offset:192
	global_load_dwordx4 v[63:66], v73, s[12:13] offset:208
	ds_read2_b32 v[73:74], v0 offset1:224
	ds_read_b32 v98, v38
	ds_read_b32 v99, v44
	ds_read2_b32 v[75:76], v24 offset0:104 offset1:160
	ds_read2_b32 v[77:78], v23 offset0:72 offset1:128
	;; [unrolled: 1-line block ×3, first 2 shown]
	ds_read_b32 v100, v37
	ds_read2_b32 v[81:82], v7 offset0:24 offset1:136
	ds_read_b32 v101, v41
	ds_read2_b32 v[83:84], v22 offset0:64 offset1:176
	ds_read2_b32 v[85:86], v21 offset0:88 offset1:144
	ds_read2_b32 v[87:88], v25 offset0:40 offset1:96
	ds_read_b32 v102, v36
	s_mov_b32 s0, 0xbf5ff5aa
	v_mul_u32_u24_e32 v20, 0x2a0, v20
	s_waitcnt lgkmcnt(0)
	; wave barrier
	s_waitcnt vmcnt(8) lgkmcnt(0)
	v_mul_f32_e32 v103, v101, v9
	v_mul_f32_e32 v9, v92, v9
	v_fmac_f32_e32 v103, v92, v8
	v_fma_f32 v8, v101, v8, -v9
	v_mul_f32_e32 v9, v98, v11
	v_mul_f32_e32 v11, v89, v11
	v_fmac_f32_e32 v9, v89, v10
	v_fma_f32 v10, v98, v10, -v11
	s_waitcnt vmcnt(7)
	v_mul_f32_e32 v11, v99, v13
	v_mul_f32_e32 v13, v90, v13
	v_fmac_f32_e32 v11, v90, v12
	v_fma_f32 v12, v99, v12, -v13
	v_mul_f32_e32 v13, v76, v15
	v_mul_f32_e32 v15, v35, v15
	v_fmac_f32_e32 v13, v35, v14
	v_fma_f32 v14, v76, v14, -v15
	s_waitcnt vmcnt(6)
	;; [unrolled: 9-line block ×3, first 2 shown]
	v_mul_f32_e32 v19, v74, v27
	v_fmac_f32_e32 v19, v6, v26
	v_mul_f32_e32 v6, v6, v27
	v_fma_f32 v6, v74, v26, -v6
	v_mul_f32_e32 v26, v82, v29
	v_mul_f32_e32 v27, v54, v29
	v_fmac_f32_e32 v26, v54, v28
	v_fma_f32 v27, v82, v28, -v27
	s_waitcnt vmcnt(4)
	v_mul_f32_e32 v28, v84, v31
	v_mul_f32_e32 v29, v68, v31
	v_fmac_f32_e32 v28, v68, v30
	v_fma_f32 v29, v84, v30, -v29
	v_mul_f32_e32 v30, v85, v33
	v_mul_f32_e32 v31, v69, v33
	v_fmac_f32_e32 v30, v69, v32
	v_fma_f32 v31, v85, v32, -v31
	s_waitcnt vmcnt(3)
	v_mul_f32_e32 v32, v78, v46
	v_mul_f32_e32 v35, v87, v48
	;; [unrolled: 1-line block ×3, first 2 shown]
	v_fmac_f32_e32 v32, v40, v45
	v_mul_f32_e32 v33, v40, v46
	v_fmac_f32_e32 v35, v71, v47
	v_fma_f32 v39, v87, v47, -v39
	s_waitcnt vmcnt(2)
	v_mul_f32_e32 v40, v81, v50
	s_waitcnt vmcnt(1)
	v_mul_f32_e32 v47, v75, v60
	v_fmac_f32_e32 v40, v53, v49
	v_mul_f32_e32 v43, v53, v50
	v_fmac_f32_e32 v47, v34, v59
	v_mul_f32_e32 v34, v34, v60
	v_add_f32_e32 v53, v103, v17
	v_add_f32_e32 v54, v8, v18
	v_sub_f32_e32 v8, v8, v18
	v_add_f32_e32 v18, v9, v15
	v_fma_f32 v34, v75, v59, -v34
	v_add_f32_e32 v59, v10, v16
	v_sub_f32_e32 v9, v9, v15
	v_add_f32_e32 v15, v11, v13
	v_sub_f32_e32 v11, v13, v11
	v_add_f32_e32 v13, v18, v53
	v_fma_f32 v33, v78, v45, -v33
	v_mul_f32_e32 v45, v83, v52
	v_mul_f32_e32 v46, v67, v52
	s_waitcnt vmcnt(0)
	v_mul_f32_e32 v50, v79, v64
	v_sub_f32_e32 v10, v10, v16
	v_add_f32_e32 v16, v12, v14
	v_sub_f32_e32 v12, v14, v12
	v_add_f32_e32 v14, v59, v54
	v_add_f32_e32 v13, v15, v13
	v_fma_f32 v43, v81, v49, -v43
	v_fmac_f32_e32 v45, v67, v51
	v_fma_f32 v46, v83, v51, -v46
	v_mul_f32_e32 v48, v86, v62
	v_mul_f32_e32 v49, v70, v62
	v_fmac_f32_e32 v50, v42, v63
	v_mul_f32_e32 v42, v42, v64
	v_mul_f32_e32 v51, v88, v66
	;; [unrolled: 1-line block ×3, first 2 shown]
	v_sub_f32_e32 v17, v103, v17
	v_add_f32_e32 v62, v11, v9
	v_add_f32_e32 v14, v16, v14
	;; [unrolled: 1-line block ×3, first 2 shown]
	v_fmac_f32_e32 v48, v70, v61
	v_fma_f32 v49, v86, v61, -v49
	v_fma_f32 v42, v79, v63, -v42
	v_fmac_f32_e32 v51, v72, v65
	v_fma_f32 v52, v88, v65, -v52
	v_sub_f32_e32 v60, v18, v53
	v_sub_f32_e32 v61, v59, v54
	;; [unrolled: 1-line block ×6, first 2 shown]
	v_add_f32_e32 v63, v12, v10
	v_sub_f32_e32 v64, v11, v9
	v_sub_f32_e32 v65, v12, v10
	;; [unrolled: 1-line block ×3, first 2 shown]
	v_add_f32_e32 v15, v62, v17
	v_add_f32_e32 v62, v73, v14
	v_mov_b32_e32 v67, v5
	v_sub_f32_e32 v11, v17, v11
	v_sub_f32_e32 v12, v8, v12
	;; [unrolled: 1-line block ×3, first 2 shown]
	v_add_f32_e32 v8, v63, v8
	v_mul_f32_e32 v16, 0x3f4a47b2, v53
	v_mul_f32_e32 v17, 0x3f4a47b2, v54
	;; [unrolled: 1-line block ×7, first 2 shown]
	v_fmac_f32_e32 v67, 0xbf955555, v13
	v_mov_b32_e32 v13, v62
	v_mul_f32_e32 v65, 0xbf5ff5aa, v9
	v_fmac_f32_e32 v13, 0xbf955555, v14
	v_fma_f32 v14, v60, s1, -v53
	v_fma_f32 v53, v61, s1, -v54
	;; [unrolled: 1-line block ×3, first 2 shown]
	v_fmac_f32_e32 v16, 0x3d64c772, v18
	v_fma_f32 v9, v9, s0, -v63
	v_fma_f32 v10, v10, s0, -v64
	v_fmac_f32_e32 v64, 0xbeae86e6, v12
	v_fma_f32 v12, v12, s7, -v66
	v_fma_f32 v18, v61, s6, -v17
	v_fmac_f32_e32 v17, 0x3d64c772, v59
	v_fmac_f32_e32 v63, 0xbeae86e6, v11
	v_fma_f32 v11, v11, s7, -v65
	v_add_f32_e32 v16, v16, v67
	v_add_f32_e32 v14, v14, v67
	v_add_f32_e32 v53, v53, v13
	v_add_f32_e32 v54, v54, v67
	v_fmac_f32_e32 v64, 0xbee1c552, v8
	v_fmac_f32_e32 v9, 0xbee1c552, v15
	;; [unrolled: 1-line block ×4, first 2 shown]
	v_add_f32_e32 v17, v17, v13
	v_add_f32_e32 v13, v18, v13
	v_fmac_f32_e32 v63, 0xbee1c552, v15
	v_fmac_f32_e32 v11, 0xbee1c552, v15
	v_add_f32_e32 v8, v64, v16
	v_add_f32_e32 v15, v12, v54
	v_sub_f32_e32 v18, v14, v10
	v_add_f32_e32 v61, v9, v53
	v_add_f32_e32 v10, v10, v14
	v_sub_f32_e32 v14, v53, v9
	v_sub_f32_e32 v9, v54, v12
	;; [unrolled: 1-line block ×3, first 2 shown]
	v_add_f32_e32 v16, v19, v35
	v_sub_f32_e32 v19, v19, v35
	v_add_f32_e32 v35, v26, v32
	v_sub_f32_e32 v59, v17, v63
	v_sub_f32_e32 v60, v13, v11
	v_add_f32_e32 v11, v11, v13
	v_add_f32_e32 v13, v63, v17
	;; [unrolled: 1-line block ×3, first 2 shown]
	v_sub_f32_e32 v6, v6, v39
	v_add_f32_e32 v39, v27, v33
	v_sub_f32_e32 v26, v26, v32
	v_add_f32_e32 v32, v28, v30
	;; [unrolled: 2-line block ×5, first 2 shown]
	v_add_f32_e32 v30, v32, v30
	v_sub_f32_e32 v53, v35, v16
	v_sub_f32_e32 v16, v16, v32
	;; [unrolled: 1-line block ×3, first 2 shown]
	v_add_f32_e32 v63, v28, v26
	v_add_f32_e32 v31, v33, v31
	;; [unrolled: 1-line block ×3, first 2 shown]
	v_sub_f32_e32 v54, v39, v17
	v_sub_f32_e32 v17, v17, v33
	;; [unrolled: 1-line block ×6, first 2 shown]
	v_add_f32_e32 v19, v63, v19
	v_add_f32_e32 v63, v100, v31
	v_mov_b32_e32 v69, v32
	v_sub_f32_e32 v39, v33, v39
	v_add_f32_e32 v64, v29, v27
	v_sub_f32_e32 v27, v27, v6
	v_mul_f32_e32 v16, 0x3f4a47b2, v16
	v_mul_f32_e32 v17, 0x3f4a47b2, v17
	;; [unrolled: 1-line block ×5, first 2 shown]
	v_fmac_f32_e32 v69, 0xbf955555, v30
	v_mov_b32_e32 v30, v63
	v_sub_f32_e32 v29, v6, v29
	v_add_f32_e32 v6, v64, v6
	v_mul_f32_e32 v64, 0x3d64c772, v39
	v_mul_f32_e32 v67, 0xbf5ff5aa, v26
	;; [unrolled: 1-line block ×3, first 2 shown]
	v_fmac_f32_e32 v30, 0xbf955555, v31
	v_fma_f32 v31, v53, s1, -v33
	v_fma_f32 v53, v53, s6, -v16
	v_fmac_f32_e32 v16, 0x3d64c772, v35
	v_fma_f32 v35, v54, s6, -v17
	v_fmac_f32_e32 v17, 0x3d64c772, v39
	;; [unrolled: 2-line block ×3, first 2 shown]
	v_fma_f32 v27, v27, s0, -v66
	v_fma_f32 v33, v54, s1, -v64
	v_fmac_f32_e32 v66, 0xbeae86e6, v29
	v_fma_f32 v28, v28, s7, -v67
	v_fma_f32 v29, v29, s7, -v68
	v_add_f32_e32 v17, v17, v30
	v_add_f32_e32 v31, v31, v69
	v_fmac_f32_e32 v65, 0xbee1c552, v19
	v_fmac_f32_e32 v27, 0xbee1c552, v6
	v_add_f32_e32 v33, v33, v30
	v_add_f32_e32 v39, v53, v69
	;; [unrolled: 1-line block ×3, first 2 shown]
	v_fmac_f32_e32 v26, 0xbee1c552, v19
	v_fmac_f32_e32 v28, 0xbee1c552, v19
	v_fmac_f32_e32 v29, 0xbee1c552, v6
	v_sub_f32_e32 v53, v17, v65
	v_sub_f32_e32 v35, v31, v27
	v_add_f32_e32 v27, v27, v31
	v_add_f32_e32 v65, v65, v17
	;; [unrolled: 1-line block ×5, first 2 shown]
	v_sub_f32_e32 v54, v30, v28
	v_add_f32_e32 v64, v26, v33
	v_sub_f32_e32 v67, v33, v26
	v_sub_f32_e32 v26, v39, v29
	v_add_f32_e32 v68, v28, v30
	v_add_f32_e32 v28, v43, v52
	v_sub_f32_e32 v29, v40, v51
	v_add_f32_e32 v33, v46, v42
	v_sub_f32_e32 v40, v46, v42
	v_add_f32_e32 v42, v47, v48
	v_add_f32_e32 v46, v31, v17
	v_sub_f32_e32 v30, v43, v52
	v_sub_f32_e32 v39, v45, v50
	v_add_f32_e32 v43, v34, v49
	v_sub_f32_e32 v45, v48, v47
	v_add_f32_e32 v47, v33, v28
	v_sub_f32_e32 v48, v31, v17
	v_sub_f32_e32 v17, v17, v42
	v_sub_f32_e32 v31, v42, v31
	v_add_f32_e32 v42, v42, v46
	v_add_f32_e32 v16, v16, v69
	v_fmac_f32_e32 v66, 0xbee1c552, v6
	v_sub_f32_e32 v34, v49, v34
	v_sub_f32_e32 v49, v33, v28
	;; [unrolled: 1-line block ×4, first 2 shown]
	v_add_f32_e32 v43, v43, v47
	v_add_f32_e32 v46, v93, v42
	;; [unrolled: 1-line block ×3, first 2 shown]
	v_sub_f32_e32 v16, v16, v66
	v_add_f32_e32 v50, v45, v39
	v_add_f32_e32 v51, v34, v40
	v_sub_f32_e32 v52, v45, v39
	v_sub_f32_e32 v66, v34, v40
	;; [unrolled: 1-line block ×3, first 2 shown]
	v_add_f32_e32 v47, v102, v43
	v_mov_b32_e32 v71, v46
	v_sub_f32_e32 v45, v29, v45
	v_sub_f32_e32 v34, v30, v34
	;; [unrolled: 1-line block ×3, first 2 shown]
	v_add_f32_e32 v29, v50, v29
	v_add_f32_e32 v30, v51, v30
	v_mul_f32_e32 v17, 0x3f4a47b2, v17
	v_mul_f32_e32 v28, 0x3f4a47b2, v28
	;; [unrolled: 1-line block ×7, first 2 shown]
	v_fmac_f32_e32 v71, 0xbf955555, v42
	v_mov_b32_e32 v42, v47
	v_mul_f32_e32 v69, 0xbf5ff5aa, v39
	v_fmac_f32_e32 v42, 0xbf955555, v43
	v_fma_f32 v43, v48, s1, -v50
	v_fma_f32 v50, v49, s1, -v51
	;; [unrolled: 1-line block ×3, first 2 shown]
	v_fmac_f32_e32 v17, 0x3d64c772, v31
	v_fma_f32 v31, v49, s6, -v28
	v_fmac_f32_e32 v28, 0x3d64c772, v33
	v_fma_f32 v33, v39, s0, -v52
	;; [unrolled: 2-line block ×4, first 2 shown]
	v_fma_f32 v40, v45, s7, -v69
	v_add_f32_e32 v28, v28, v42
	v_add_f32_e32 v43, v43, v71
	;; [unrolled: 1-line block ×4, first 2 shown]
	v_fmac_f32_e32 v52, 0xbee1c552, v29
	v_fmac_f32_e32 v33, 0xbee1c552, v29
	;; [unrolled: 1-line block ×4, first 2 shown]
	v_add_f32_e32 v31, v31, v42
	v_fmac_f32_e32 v66, 0xbee1c552, v30
	v_fmac_f32_e32 v40, 0xbee1c552, v29
	v_sub_f32_e32 v42, v28, v52
	v_add_f32_e32 v30, v34, v48
	v_sub_f32_e32 v50, v43, v39
	v_add_f32_e32 v51, v33, v45
	v_add_f32_e32 v39, v39, v43
	v_sub_f32_e32 v43, v45, v33
	v_sub_f32_e32 v33, v48, v34
	v_add_f32_e32 v48, v52, v28
	v_mov_b32_e32 v28, 2
	v_sub_f32_e32 v49, v31, v40
	v_add_f32_e32 v45, v40, v31
	v_lshlrev_b32_sdwa v31, v28, v55 dst_sel:DWORD dst_unused:UNUSED_PAD src0_sel:DWORD src1_sel:BYTE_0
	v_add3_u32 v52, 0, v20, v31
	ds_write2_b32 v52, v5, v8 offset1:24
	ds_write2_b32 v52, v15, v18 offset0:48 offset1:72
	ds_write2_b32 v52, v10, v9 offset0:96 offset1:120
	ds_write_b32 v52, v12 offset:576
	v_mul_u32_u24_e32 v5, 0x2a0, v94
	v_lshlrev_b32_sdwa v8, v28, v95 dst_sel:DWORD dst_unused:UNUSED_PAD src0_sel:DWORD src1_sel:BYTE_0
	v_add3_u32 v5, 0, v5, v8
	v_add_f32_e32 v17, v17, v71
	ds_write2_b32 v5, v32, v6 offset1:24
	ds_write2_b32 v5, v19, v35 offset0:48 offset1:72
	ds_write2_b32 v5, v27, v26 offset0:96 offset1:120
	ds_write_b32 v5, v16 offset:576
	v_mul_u32_u24_e32 v6, 0x2a0, v96
	v_lshlrev_b32_sdwa v8, v28, v97 dst_sel:DWORD dst_unused:UNUSED_PAD src0_sel:DWORD src1_sel:BYTE_0
	v_add_f32_e32 v29, v66, v17
	v_sub_f32_e32 v17, v17, v66
	v_add3_u32 v6, 0, v6, v8
	ds_write2_b32 v6, v46, v29 offset1:24
	ds_write2_b32 v6, v30, v50 offset0:48 offset1:72
	ds_write2_b32 v6, v39, v33 offset0:96 offset1:120
	ds_write_b32 v6, v17 offset:576
	s_waitcnt lgkmcnt(0)
	; wave barrier
	s_waitcnt lgkmcnt(0)
	ds_read2_b32 v[9:10], v0 offset1:224
	ds_read_b32 v34, v38
	ds_read_b32 v35, v44
	ds_read2_b32 v[17:18], v24 offset0:104 offset1:160
	ds_read2_b32 v[15:16], v23 offset0:72 offset1:128
	;; [unrolled: 1-line block ×3, first 2 shown]
	ds_read_b32 v40, v37
	ds_read2_b32 v[26:27], v7 offset0:24 offset1:136
	ds_read2_b32 v[30:31], v22 offset0:64 offset1:176
	;; [unrolled: 1-line block ×4, first 2 shown]
	ds_read_b32 v39, v41
	ds_read_b32 v8, v36
	s_waitcnt lgkmcnt(0)
	; wave barrier
	s_waitcnt lgkmcnt(0)
	ds_write2_b32 v52, v62, v59 offset1:24
	ds_write2_b32 v52, v60, v61 offset0:48 offset1:72
	ds_write2_b32 v52, v14, v11 offset0:96 offset1:120
	ds_write_b32 v52, v13 offset:576
	ds_write2_b32 v5, v63, v53 offset1:24
	ds_write2_b32 v5, v54, v64 offset0:48 offset1:72
	ds_write2_b32 v5, v67, v68 offset0:96 offset1:120
	ds_write_b32 v5, v65 offset:576
	;; [unrolled: 4-line block ×3, first 2 shown]
	s_waitcnt lgkmcnt(0)
	; wave barrier
	s_waitcnt lgkmcnt(0)
	s_and_saveexec_b64 s[8:9], vcc
	s_cbranch_execz .LBB0_37
; %bb.36:
	v_mul_i32_i24_e32 v42, 6, v58
	v_mov_b32_e32 v43, 0
	v_lshlrev_b64 v[5:6], 3, v[42:43]
	v_mov_b32_e32 v25, s13
	v_add_co_u32_e32 v5, vcc, s12, v5
	v_addc_co_u32_e32 v6, vcc, v25, v6, vcc
	global_load_dwordx4 v[11:14], v[5:6], off offset:1328
	global_load_dwordx4 v[21:24], v[5:6], off offset:1360
	;; [unrolled: 1-line block ×3, first 2 shown]
	v_add_u32_e32 v42, 0x600, v0
	v_mul_lo_u32 v49, s5, v3
	v_mul_lo_u32 v50, s4, v4
	v_mad_u64_u32 v[5:6], s[4:5], s4, v3, 0
	ds_read2_b32 v[53:54], v7 offset0:24 offset1:136
	v_add_u32_e32 v3, 0x1000, v0
	v_add_u32_e32 v4, 0xa00, v0
	;; [unrolled: 1-line block ×4, first 2 shown]
	ds_read_b32 v69, v41
	ds_read_b32 v70, v44
	;; [unrolled: 1-line block ×5, first 2 shown]
	ds_read2_b32 v[36:37], v3 offset0:40 offset1:96
	ds_read2_b32 v[61:62], v4 offset0:88 offset1:144
	;; [unrolled: 1-line block ×5, first 2 shown]
	v_mul_i32_i24_e32 v42, 6, v57
	v_lshlrev_b64 v[3:4], 3, v[42:43]
	v_add3_u32 v6, v6, v50, v49
	v_add_co_u32_e32 v3, vcc, s12, v3
	v_addc_co_u32_e32 v4, vcc, v25, v4, vcc
	global_load_dwordx4 v[41:44], v[3:4], off offset:1328
	global_load_dwordx4 v[49:52], v[3:4], off offset:1360
	;; [unrolled: 1-line block ×3, first 2 shown]
	s_mov_b32 s4, 0x18618619
	v_lshlrev_b64 v[5:6], 3, v[5:6]
	s_waitcnt vmcnt(5) lgkmcnt(10)
	v_mul_f32_e32 v3, v12, v53
	s_waitcnt vmcnt(4) lgkmcnt(4)
	v_mul_f32_e32 v4, v24, v37
	;; [unrolled: 2-line block ×3, first 2 shown]
	s_waitcnt lgkmcnt(2)
	v_mul_f32_e32 v25, v46, v63
	s_waitcnt lgkmcnt(1)
	v_mul_f32_e32 v73, v14, v65
	;; [unrolled: 2-line block ×3, first 2 shown]
	v_mul_f32_e32 v24, v33, v24
	v_mul_f32_e32 v12, v26, v12
	;; [unrolled: 1-line block ×6, first 2 shown]
	v_fmac_f32_e32 v3, v26, v11
	v_fmac_f32_e32 v7, v29, v47
	;; [unrolled: 1-line block ×5, first 2 shown]
	v_fma_f32 v17, v23, v37, -v24
	v_fma_f32 v11, v11, v53, -v12
	;; [unrolled: 1-line block ×6, first 2 shown]
	v_fmac_f32_e32 v4, v33, v23
	v_sub_f32_e32 v13, v7, v25
	v_sub_f32_e32 v24, v73, v74
	v_add_f32_e32 v26, v11, v17
	v_add_f32_e32 v14, v19, v12
	;; [unrolled: 1-line block ×3, first 2 shown]
	v_sub_f32_e32 v23, v3, v4
	v_add_f32_e32 v30, v3, v4
	v_sub_f32_e32 v4, v13, v24
	v_sub_f32_e32 v33, v14, v29
	v_add_f32_e32 v37, v26, v29
	v_add_f32_e32 v3, v7, v25
	v_sub_f32_e32 v7, v23, v13
	v_add_f32_e32 v13, v13, v24
	v_mul_f32_e32 v45, 0x3f08b237, v4
	v_mul_f32_e32 v33, 0x3d64c772, v33
	v_add_f32_e32 v4, v14, v37
	v_sub_f32_e32 v25, v26, v14
	v_add_f32_e32 v46, v23, v13
	v_mov_b32_e32 v13, v33
	v_add_f32_e32 v14, v38, v4
	v_add_f32_e32 v38, v73, v74
	v_mul_f32_e32 v47, 0x3f4a47b2, v25
	v_fmac_f32_e32 v13, 0x3f4a47b2, v25
	v_mov_b32_e32 v25, v14
	v_sub_f32_e32 v62, v3, v38
	v_fmac_f32_e32 v25, 0xbf955555, v4
	v_mul_f32_e32 v62, 0x3d64c772, v62
	v_add_f32_e32 v53, v13, v25
	v_sub_f32_e32 v13, v30, v3
	v_mov_b32_e32 v63, v62
	v_mul_f32_e32 v37, 0x3f4a47b2, v13
	v_fmac_f32_e32 v63, 0x3f4a47b2, v13
	v_add_f32_e32 v13, v30, v38
	v_add_f32_e32 v3, v3, v13
	;; [unrolled: 1-line block ×3, first 2 shown]
	v_mov_b32_e32 v65, v13
	v_fmac_f32_e32 v65, 0xbf955555, v3
	v_sub_f32_e32 v11, v11, v17
	v_sub_f32_e32 v3, v19, v12
	;; [unrolled: 1-line block ×5, first 2 shown]
	v_mov_b32_e32 v48, v45
	v_mul_f32_e32 v19, 0x3f08b237, v8
	v_mul_f32_e32 v8, 0xbf5ff5aa, v22
	v_sub_f32_e32 v24, v29, v26
	v_fmac_f32_e32 v48, 0xbeae86e6, v7
	v_sub_f32_e32 v12, v11, v3
	v_add_f32_e32 v3, v3, v17
	v_fma_f32 v23, v7, s7, -v8
	v_fma_f32 v7, v24, s6, -v47
	v_sub_f32_e32 v29, v38, v30
	v_mov_b32_e32 v67, v19
	v_add_f32_e32 v21, v11, v3
	v_add_f32_e32 v26, v7, v25
	v_fma_f32 v7, v29, s6, -v37
	v_sub_f32_e32 v11, v17, v11
	v_fmac_f32_e32 v67, 0xbeae86e6, v12
	v_add_f32_e32 v30, v7, v65
	v_mul_f32_e32 v7, 0xbf5ff5aa, v11
	v_add_f32_e32 v63, v63, v65
	v_fmac_f32_e32 v67, 0xbee1c552, v21
	v_fma_f32 v17, v12, s7, -v7
	v_fma_f32 v12, v24, s1, -v33
	v_sub_f32_e32 v3, v63, v67
	v_add_f32_e32 v24, v12, v25
	v_fma_f32 v19, v11, s0, -v19
	v_fma_f32 v11, v29, s1, -v62
	ds_read2_b32 v[37:38], v0 offset1:224
	v_add_f32_e32 v25, v67, v63
	ds_read2_b32 v[62:63], v55 offset0:72 offset1:128
	v_fmac_f32_e32 v17, 0xbee1c552, v21
	v_fmac_f32_e32 v19, 0xbee1c552, v21
	v_add_f32_e32 v21, v11, v65
	v_fma_f32 v22, v22, s0, -v45
	v_add_f32_e32 v11, v19, v21
	v_sub_f32_e32 v21, v21, v19
	s_waitcnt vmcnt(2) lgkmcnt(1)
	v_mul_f32_e32 v0, v42, v38
	s_waitcnt vmcnt(1)
	v_mul_f32_e32 v19, v52, v36
	s_waitcnt vmcnt(0)
	v_mul_f32_e32 v67, v60, v61
	v_mul_f32_e32 v73, v58, v66
	;; [unrolled: 1-line block ×3, first 2 shown]
	s_waitcnt lgkmcnt(0)
	v_mul_f32_e32 v75, v50, v63
	v_fmac_f32_e32 v23, 0xbee1c552, v46
	v_fmac_f32_e32 v22, 0xbee1c552, v46
	;; [unrolled: 1-line block ×8, first 2 shown]
	v_add_f32_e32 v8, v23, v26
	v_sub_f32_e32 v7, v30, v17
	v_sub_f32_e32 v12, v24, v22
	v_add_f32_e32 v22, v22, v24
	v_sub_f32_e32 v24, v26, v23
	v_add_f32_e32 v23, v17, v30
	v_sub_f32_e32 v65, v0, v19
	v_sub_f32_e32 v17, v67, v73
	;; [unrolled: 1-line block ×5, first 2 shown]
	v_add_f32_e32 v17, v17, v76
	v_add_f32_e32 v79, v65, v17
	v_mul_f32_e32 v17, v32, v52
	v_fma_f32 v32, v51, v36, -v17
	v_mul_f32_e32 v10, v10, v42
	v_mul_f32_e32 v17, v31, v58
	v_fma_f32 v10, v41, v38, -v10
	v_fma_f32 v38, v57, v66, -v17
	v_mul_f32_e32 v17, v28, v60
	v_mul_u32_u24_e32 v28, 6, v56
	v_fmac_f32_e32 v48, 0xbee1c552, v46
	v_lshlrev_b32_e32 v33, 3, v28
	v_add_f32_e32 v4, v48, v53
	v_sub_f32_e32 v26, v53, v48
	v_mul_f32_e32 v77, 0x3f08b237, v29
	global_load_dwordx4 v[28:31], v33, s[12:13] offset:1328
	global_load_dwordx4 v[45:48], v33, s[12:13] offset:1360
	v_mul_f32_e32 v16, v16, v50
	global_load_dwordx4 v[50:53], v33, s[12:13] offset:1344
	v_fma_f32 v49, v49, v63, -v16
	v_mul_f32_e32 v16, v27, v44
	v_fma_f32 v41, v59, v61, -v17
	v_fma_f32 v27, v43, v54, -v16
	v_add_f32_e32 v36, v10, v32
	v_add_f32_e32 v17, v41, v38
	;; [unrolled: 1-line block ×3, first 2 shown]
	v_sub_f32_e32 v16, v17, v43
	v_add_f32_e32 v33, v36, v43
	v_mul_f32_e32 v44, 0x3d64c772, v16
	v_add_f32_e32 v33, v17, v33
	v_sub_f32_e32 v42, v36, v17
	v_mov_b32_e32 v16, v44
	v_add_f32_e32 v17, v72, v33
	v_mul_f32_e32 v57, 0x3f4a47b2, v42
	v_fmac_f32_e32 v16, 0x3f4a47b2, v42
	v_mov_b32_e32 v42, v17
	v_fmac_f32_e32 v42, 0xbf955555, v33
	v_add_f32_e32 v59, v16, v42
	v_add_f32_e32 v16, v67, v73
	v_add_f32_e32 v58, v74, v75
	v_sub_f32_e32 v60, v16, v58
	v_add_f32_e32 v0, v0, v19
	v_mul_f32_e32 v60, 0x3d64c772, v60
	v_sub_f32_e32 v19, v0, v16
	v_mov_b32_e32 v61, v60
	v_mul_f32_e32 v54, 0x3f4a47b2, v19
	v_fmac_f32_e32 v61, 0x3f4a47b2, v19
	v_add_f32_e32 v19, v0, v58
	v_add_f32_e32 v19, v16, v19
	;; [unrolled: 1-line block ×3, first 2 shown]
	v_sub_f32_e32 v10, v10, v32
	v_sub_f32_e32 v32, v41, v38
	v_sub_f32_e32 v27, v27, v49
	v_mov_b32_e32 v63, v16
	v_sub_f32_e32 v38, v10, v32
	v_sub_f32_e32 v40, v32, v27
	v_add_f32_e32 v32, v32, v27
	v_sub_f32_e32 v65, v76, v65
	v_fmac_f32_e32 v63, 0xbf955555, v19
	v_mul_f32_e32 v49, 0x3f08b237, v40
	v_add_f32_e32 v66, v10, v32
	v_mul_f32_e32 v40, 0xbf5ff5aa, v65
	v_sub_f32_e32 v36, v43, v36
	v_sub_f32_e32 v10, v27, v10
	v_mov_b32_e32 v78, v77
	v_add_f32_e32 v19, v61, v63
	v_mov_b32_e32 v61, v49
	v_fma_f32 v67, v55, s7, -v40
	v_fma_f32 v40, v36, s6, -v57
	v_sub_f32_e32 v0, v58, v0
	v_mul_f32_e32 v27, 0xbf5ff5aa, v10
	v_fmac_f32_e32 v78, 0xbeae86e6, v55
	v_fmac_f32_e32 v61, 0xbeae86e6, v38
	v_add_f32_e32 v57, v40, v42
	v_fma_f32 v40, v0, s6, -v54
	v_fma_f32 v27, v38, s7, -v27
	;; [unrolled: 1-line block ×6, first 2 shown]
	v_fmac_f32_e32 v78, 0xbee1c552, v79
	v_fmac_f32_e32 v61, 0xbee1c552, v66
	;; [unrolled: 1-line block ×3, first 2 shown]
	v_add_f32_e32 v72, v40, v63
	v_fmac_f32_e32 v27, 0xbee1c552, v66
	v_add_f32_e32 v36, v36, v42
	v_fmac_f32_e32 v38, 0xbee1c552, v79
	v_fmac_f32_e32 v10, 0xbee1c552, v66
	v_add_f32_e32 v0, v0, v63
	v_add_f32_e32 v33, v78, v59
	v_sub_f32_e32 v32, v19, v61
	v_add_f32_e32 v41, v67, v57
	v_sub_f32_e32 v40, v72, v27
	v_sub_f32_e32 v43, v36, v38
	v_add_f32_e32 v42, v10, v0
	v_add_f32_e32 v55, v38, v36
	v_sub_f32_e32 v54, v0, v10
	v_sub_f32_e32 v58, v57, v67
	v_add_f32_e32 v57, v27, v72
	v_sub_f32_e32 v60, v59, v78
	v_add_f32_e32 v59, v61, v19
	s_waitcnt vmcnt(2)
	v_mul_f32_e32 v0, v29, v69
	s_waitcnt vmcnt(1)
	v_mul_f32_e32 v27, v48, v68
	;; [unrolled: 2-line block ×3, first 2 shown]
	v_mul_f32_e32 v44, v51, v70
	v_mul_f32_e32 v61, v31, v71
	;; [unrolled: 1-line block ×3, first 2 shown]
	v_fmac_f32_e32 v0, v39, v28
	v_fmac_f32_e32 v27, v20, v47
	;; [unrolled: 1-line block ×6, first 2 shown]
	v_sub_f32_e32 v36, v0, v27
	v_sub_f32_e32 v10, v38, v44
	;; [unrolled: 1-line block ×5, first 2 shown]
	v_add_f32_e32 v10, v10, v65
	v_add_f32_e32 v72, v36, v10
	v_mul_f32_e32 v10, v20, v48
	v_fma_f32 v20, v47, v68, -v10
	v_mul_f32_e32 v10, v39, v29
	v_fma_f32 v28, v28, v69, -v10
	;; [unrolled: 2-line block ×3, first 2 shown]
	v_mul_f32_e32 v10, v18, v53
	v_mul_f32_e32 v15, v15, v46
	;; [unrolled: 1-line block ×3, first 2 shown]
	v_fma_f32 v18, v52, v64, -v10
	v_fma_f32 v15, v45, v62, -v15
	v_fma_f32 v30, v30, v71, -v31
	v_add_f32_e32 v10, v18, v35
	v_add_f32_e32 v31, v30, v15
	v_sub_f32_e32 v34, v10, v31
	v_add_f32_e32 v29, v28, v20
	v_mul_f32_e32 v34, 0x3d64c772, v34
	v_mul_f32_e32 v66, 0x3f08b237, v19
	v_sub_f32_e32 v19, v29, v10
	v_mov_b32_e32 v45, v34
	v_mul_f32_e32 v39, 0x3f4a47b2, v19
	v_fmac_f32_e32 v45, 0x3f4a47b2, v19
	v_add_f32_e32 v19, v29, v31
	v_add_f32_e32 v19, v10, v19
	;; [unrolled: 1-line block ×3, first 2 shown]
	v_mov_b32_e32 v37, v10
	v_fmac_f32_e32 v37, 0xbf955555, v19
	v_add_f32_e32 v46, v45, v37
	v_add_f32_e32 v0, v0, v27
	;; [unrolled: 1-line block ×4, first 2 shown]
	v_sub_f32_e32 v47, v27, v45
	v_mul_f32_e32 v47, 0x3d64c772, v47
	v_sub_f32_e32 v38, v0, v27
	v_mov_b32_e32 v48, v47
	v_mul_f32_e32 v44, 0x3f4a47b2, v38
	v_fmac_f32_e32 v48, 0x3f4a47b2, v38
	v_add_f32_e32 v38, v0, v45
	v_add_f32_e32 v27, v27, v38
	v_sub_f32_e32 v18, v18, v35
	v_sub_f32_e32 v15, v30, v15
	v_add_f32_e32 v9, v9, v27
	v_sub_f32_e32 v20, v28, v20
	v_sub_f32_e32 v28, v18, v15
	;; [unrolled: 1-line block ×3, first 2 shown]
	v_mov_b32_e32 v67, v66
	v_mov_b32_e32 v38, v9
	v_mul_f32_e32 v35, 0x3f08b237, v28
	v_mul_f32_e32 v28, 0xbf5ff5aa, v30
	v_sub_f32_e32 v29, v31, v29
	v_sub_f32_e32 v0, v45, v0
	v_fmac_f32_e32 v67, 0xbeae86e6, v49
	v_fmac_f32_e32 v38, 0xbf955555, v27
	v_fma_f32 v49, v49, s7, -v28
	v_fma_f32 v28, v29, s6, -v39
	;; [unrolled: 1-line block ×4, first 2 shown]
	v_add_f32_e32 v52, v36, v38
	v_add_f32_e32 v36, v29, v37
	v_lshrrev_b32_e32 v29, 3, v56
	v_mul_hi_u32 v29, v29, s4
	v_sub_f32_e32 v27, v20, v18
	v_add_f32_e32 v18, v18, v15
	v_sub_f32_e32 v15, v15, v20
	v_add_f32_e32 v51, v20, v18
	v_add_f32_e32 v31, v28, v37
	v_mul_f32_e32 v20, 0xbf5ff5aa, v15
	v_fma_f32 v37, v30, s0, -v66
	v_fma_f32 v15, v15, s0, -v35
	v_lshrrev_b32_e32 v29, 1, v29
	s_movk_i32 s0, 0xa8
	v_mul_lo_u32 v34, v29, s0
	v_fma_f32 v0, v0, s1, -v47
	v_mov_b32_e32 v50, v35
	v_fma_f32 v20, v27, s7, -v20
	v_sub_u32_e32 v47, v56, v34
	v_mad_u64_u32 v[34:35], s[6:7], s2, v47, 0
	v_fmac_f32_e32 v37, 0xbee1c552, v72
	v_fmac_f32_e32 v15, 0xbee1c552, v51
	v_add_f32_e32 v0, v0, v38
	v_fmac_f32_e32 v49, 0xbee1c552, v72
	v_sub_f32_e32 v30, v36, v37
	v_add_f32_e32 v29, v15, v0
	v_add_f32_e32 v37, v37, v36
	v_sub_f32_e32 v36, v0, v15
	v_mov_b32_e32 v0, v35
	v_add_f32_e32 v28, v49, v31
	v_fmac_f32_e32 v20, 0xbee1c552, v51
	v_sub_f32_e32 v39, v31, v49
	v_mad_u64_u32 v[44:45], s[6:7], s3, v47, v[0:1]
	v_mov_b32_e32 v0, s11
	v_add_co_u32_e32 v15, vcc, s10, v5
	v_add_u32_e32 v31, 0xa8, v47
	v_add_f32_e32 v48, v48, v38
	v_fmac_f32_e32 v50, 0xbeae86e6, v27
	v_sub_f32_e32 v27, v52, v20
	v_add_f32_e32 v38, v20, v52
	v_addc_co_u32_e32 v20, vcc, v0, v6, vcc
	v_mad_u64_u32 v[5:6], s[6:7], s2, v31, 0
	v_lshlrev_b64 v[0:1], 3, v[1:2]
	v_mov_b32_e32 v35, v44
	v_add_co_u32_e32 v44, vcc, v15, v0
	v_mov_b32_e32 v2, v6
	v_addc_co_u32_e32 v20, vcc, v20, v1, vcc
	v_lshlrev_b64 v[0:1], 3, v[34:35]
	v_mad_u64_u32 v[34:35], s[6:7], s3, v31, v[2:3]
	v_add_co_u32_e32 v0, vcc, v44, v0
	v_addc_co_u32_e32 v1, vcc, v20, v1, vcc
	global_store_dwordx2 v[0:1], v[9:10], off
	v_mov_b32_e32 v6, v34
	v_add_u32_e32 v9, 0x150, v47
	v_lshlrev_b64 v[0:1], 3, v[5:6]
	v_mad_u64_u32 v[5:6], s[6:7], s2, v9, 0
	v_fmac_f32_e32 v67, 0xbee1c552, v72
	v_fmac_f32_e32 v50, 0xbee1c552, v51
	v_mov_b32_e32 v2, v6
	v_mad_u64_u32 v[9:10], s[6:7], s3, v9, v[2:3]
	v_add_u32_e32 v10, 0x1f8, v47
	v_mad_u64_u32 v[34:35], s[6:7], s2, v10, 0
	v_add_co_u32_e32 v0, vcc, v44, v0
	v_add_f32_e32 v19, v67, v46
	v_sub_f32_e32 v46, v46, v67
	v_add_f32_e32 v45, v50, v48
	v_addc_co_u32_e32 v1, vcc, v20, v1, vcc
	v_mov_b32_e32 v6, v9
	v_mov_b32_e32 v2, v35
	global_store_dwordx2 v[0:1], v[45:46], off
	v_lshlrev_b64 v[0:1], 3, v[5:6]
	v_mad_u64_u32 v[5:6], s[6:7], s3, v10, v[2:3]
	v_add_u32_e32 v9, 0x2a0, v47
	v_add_co_u32_e32 v0, vcc, v44, v0
	v_mov_b32_e32 v35, v5
	v_mad_u64_u32 v[5:6], s[6:7], s2, v9, 0
	v_addc_co_u32_e32 v1, vcc, v20, v1, vcc
	v_mov_b32_e32 v2, v6
	v_mad_u64_u32 v[9:10], s[6:7], s3, v9, v[2:3]
	v_add_u32_e32 v10, 0x348, v47
	global_store_dwordx2 v[0:1], v[38:39], off
	v_lshlrev_b64 v[0:1], 3, v[34:35]
	v_mad_u64_u32 v[34:35], s[6:7], s2, v10, 0
	v_add_co_u32_e32 v0, vcc, v44, v0
	v_addc_co_u32_e32 v1, vcc, v20, v1, vcc
	v_mov_b32_e32 v6, v9
	v_mov_b32_e32 v2, v35
	global_store_dwordx2 v[0:1], v[36:37], off
	v_lshlrev_b64 v[0:1], 3, v[5:6]
	v_mad_u64_u32 v[5:6], s[6:7], s3, v10, v[2:3]
	v_add_u32_e32 v9, 56, v56
	v_add_co_u32_e32 v0, vcc, v44, v0
	v_mov_b32_e32 v35, v5
	v_lshrrev_b32_e32 v5, 3, v9
	v_mul_hi_u32 v10, v5, s4
	v_addc_co_u32_e32 v1, vcc, v20, v1, vcc
	v_add_u32_e32 v2, 0x3f0, v47
	global_store_dwordx2 v[0:1], v[29:30], off
	v_lshlrev_b64 v[0:1], 3, v[34:35]
	v_mad_u64_u32 v[5:6], s[6:7], s2, v2, 0
	v_lshrrev_b32_e32 v10, 1, v10
	v_add_co_u32_e32 v0, vcc, v44, v0
	v_mul_lo_u32 v15, v10, s0
	v_addc_co_u32_e32 v1, vcc, v20, v1, vcc
	global_store_dwordx2 v[0:1], v[27:28], off
	v_mov_b32_e32 v0, v6
	v_mad_u64_u32 v[0:1], s[6:7], s3, v2, v[0:1]
	v_sub_u32_e32 v1, v9, v15
	s_movk_i32 s1, 0x498
	v_mad_u64_u32 v[1:2], s[6:7], v10, s1, v[1:2]
	v_mov_b32_e32 v6, v0
	v_lshlrev_b64 v[5:6], 3, v[5:6]
	v_mad_u64_u32 v[9:10], s[6:7], s2, v1, 0
	v_add_u32_e32 v2, 0xa8, v1
	v_add_co_u32_e32 v5, vcc, v44, v5
	v_mov_b32_e32 v0, v10
	v_mad_u64_u32 v[27:28], s[6:7], s3, v1, v[0:1]
	v_mad_u64_u32 v[28:29], s[6:7], s2, v2, 0
	v_sub_f32_e32 v18, v48, v50
	v_addc_co_u32_e32 v6, vcc, v20, v6, vcc
	v_mov_b32_e32 v10, v27
	v_mov_b32_e32 v0, v29
	global_store_dwordx2 v[5:6], v[18:19], off
	v_lshlrev_b64 v[5:6], 3, v[9:10]
	v_mad_u64_u32 v[9:10], s[6:7], s3, v2, v[0:1]
	v_add_u32_e32 v2, 0x150, v1
	v_add_co_u32_e32 v5, vcc, v44, v5
	v_mov_b32_e32 v29, v9
	v_mad_u64_u32 v[9:10], s[6:7], s2, v2, 0
	v_addc_co_u32_e32 v6, vcc, v20, v6, vcc
	v_mov_b32_e32 v0, v10
	global_store_dwordx2 v[5:6], v[16:17], off
	v_mad_u64_u32 v[15:16], s[6:7], s3, v2, v[0:1]
	v_add_u32_e32 v2, 0x1f8, v1
	v_mad_u64_u32 v[16:17], s[6:7], s2, v2, 0
	v_lshlrev_b64 v[5:6], 3, v[28:29]
	v_mov_b32_e32 v10, v15
	v_add_co_u32_e32 v5, vcc, v44, v5
	v_addc_co_u32_e32 v6, vcc, v20, v6, vcc
	v_mov_b32_e32 v0, v17
	global_store_dwordx2 v[5:6], v[59:60], off
	v_lshlrev_b64 v[5:6], 3, v[9:10]
	v_mad_u64_u32 v[9:10], s[6:7], s3, v2, v[0:1]
	v_add_u32_e32 v2, 0x2a0, v1
	v_add_co_u32_e32 v5, vcc, v44, v5
	v_mov_b32_e32 v17, v9
	v_mad_u64_u32 v[9:10], s[6:7], s2, v2, 0
	v_addc_co_u32_e32 v6, vcc, v20, v6, vcc
	v_mov_b32_e32 v0, v10
	global_store_dwordx2 v[5:6], v[57:58], off
	v_lshlrev_b64 v[5:6], 3, v[16:17]
	v_mad_u64_u32 v[15:16], s[6:7], s3, v2, v[0:1]
	v_add_u32_e32 v2, 0x348, v1
	v_mad_u64_u32 v[16:17], s[6:7], s2, v2, 0
	v_add_co_u32_e32 v5, vcc, v44, v5
	v_addc_co_u32_e32 v6, vcc, v20, v6, vcc
	v_mov_b32_e32 v10, v15
	v_mov_b32_e32 v0, v17
	global_store_dwordx2 v[5:6], v[54:55], off
	v_lshlrev_b64 v[5:6], 3, v[9:10]
	v_mad_u64_u32 v[9:10], s[6:7], s3, v2, v[0:1]
	v_add_u32_e32 v2, 0x70, v56
	v_lshrrev_b32_e32 v0, 3, v2
	v_mov_b32_e32 v17, v9
	v_mul_hi_u32 v9, v0, s4
	v_add_u32_e32 v15, 0x3f0, v1
	v_mad_u64_u32 v[0:1], s[4:5], s2, v15, 0
	v_lshrrev_b32_e32 v9, 1, v9
	v_mul_lo_u32 v10, v9, s0
	v_add_co_u32_e32 v5, vcc, v44, v5
	v_addc_co_u32_e32 v6, vcc, v20, v6, vcc
	v_sub_u32_e32 v2, v2, v10
	v_mad_u64_u32 v[9:10], s[0:1], v9, s1, v[2:3]
	global_store_dwordx2 v[5:6], v[42:43], off
	v_lshlrev_b64 v[5:6], 3, v[16:17]
	v_mad_u64_u32 v[1:2], s[0:1], s3, v15, v[1:2]
	v_mad_u64_u32 v[15:16], s[0:1], s2, v9, 0
	v_add_co_u32_e32 v5, vcc, v44, v5
	v_addc_co_u32_e32 v6, vcc, v20, v6, vcc
	v_mov_b32_e32 v2, v16
	global_store_dwordx2 v[5:6], v[40:41], off
	v_mad_u64_u32 v[5:6], s[0:1], s3, v9, v[2:3]
	v_add_u32_e32 v10, 0xa8, v9
	v_lshlrev_b64 v[0:1], 3, v[0:1]
	v_mov_b32_e32 v16, v5
	v_mad_u64_u32 v[5:6], s[0:1], s2, v10, 0
	v_add_co_u32_e32 v0, vcc, v44, v0
	v_addc_co_u32_e32 v1, vcc, v20, v1, vcc
	v_mov_b32_e32 v2, v6
	global_store_dwordx2 v[0:1], v[32:33], off
	v_lshlrev_b64 v[0:1], 3, v[15:16]
	v_mad_u64_u32 v[15:16], s[0:1], s3, v10, v[2:3]
	v_add_u32_e32 v10, 0x150, v9
	v_mad_u64_u32 v[16:17], s[0:1], s2, v10, 0
	v_add_co_u32_e32 v0, vcc, v44, v0
	v_addc_co_u32_e32 v1, vcc, v20, v1, vcc
	v_mov_b32_e32 v6, v15
	v_mov_b32_e32 v2, v17
	global_store_dwordx2 v[0:1], v[13:14], off
	v_lshlrev_b64 v[0:1], 3, v[5:6]
	v_mad_u64_u32 v[5:6], s[0:1], s3, v10, v[2:3]
	v_add_u32_e32 v10, 0x1f8, v9
	v_add_co_u32_e32 v0, vcc, v44, v0
	v_mov_b32_e32 v17, v5
	v_mad_u64_u32 v[5:6], s[0:1], s2, v10, 0
	v_addc_co_u32_e32 v1, vcc, v20, v1, vcc
	v_mov_b32_e32 v2, v6
	v_mad_u64_u32 v[13:14], s[0:1], s3, v10, v[2:3]
	v_add_u32_e32 v10, 0x2a0, v9
	v_mad_u64_u32 v[14:15], s[0:1], s2, v10, 0
	global_store_dwordx2 v[0:1], v[25:26], off
	v_lshlrev_b64 v[0:1], 3, v[16:17]
	v_mov_b32_e32 v6, v13
	v_add_co_u32_e32 v0, vcc, v44, v0
	v_addc_co_u32_e32 v1, vcc, v20, v1, vcc
	v_mov_b32_e32 v2, v15
	global_store_dwordx2 v[0:1], v[23:24], off
	v_lshlrev_b64 v[0:1], 3, v[5:6]
	v_mad_u64_u32 v[5:6], s[0:1], s3, v10, v[2:3]
	v_add_u32_e32 v10, 0x348, v9
	v_add_co_u32_e32 v0, vcc, v44, v0
	v_mov_b32_e32 v15, v5
	v_mad_u64_u32 v[5:6], s[0:1], s2, v10, 0
	v_addc_co_u32_e32 v1, vcc, v20, v1, vcc
	v_mov_b32_e32 v2, v6
	global_store_dwordx2 v[0:1], v[21:22], off
	v_lshlrev_b64 v[0:1], 3, v[14:15]
	v_mad_u64_u32 v[13:14], s[0:1], s3, v10, v[2:3]
	v_add_u32_e32 v14, 0x3f0, v9
	v_mad_u64_u32 v[9:10], s[0:1], s2, v14, 0
	v_add_co_u32_e32 v0, vcc, v44, v0
	v_addc_co_u32_e32 v1, vcc, v20, v1, vcc
	v_mov_b32_e32 v6, v13
	v_mov_b32_e32 v2, v10
	global_store_dwordx2 v[0:1], v[11:12], off
	v_lshlrev_b64 v[0:1], 3, v[5:6]
	v_mad_u64_u32 v[5:6], s[0:1], s3, v14, v[2:3]
	v_add_co_u32_e32 v0, vcc, v44, v0
	v_addc_co_u32_e32 v1, vcc, v20, v1, vcc
	v_mov_b32_e32 v10, v5
	global_store_dwordx2 v[0:1], v[7:8], off
	v_lshlrev_b64 v[0:1], 3, v[9:10]
	v_add_co_u32_e32 v0, vcc, v44, v0
	v_addc_co_u32_e32 v1, vcc, v20, v1, vcc
	global_store_dwordx2 v[0:1], v[3:4], off
.LBB0_37:
	s_endpgm
	.section	.rodata,"a",@progbits
	.p2align	6, 0x0
	.amdhsa_kernel fft_rtc_back_len1176_factors_2_2_2_3_7_7_wgs_56_tpt_56_halfLds_sp_op_CI_CI_sbrr_dirReg
		.amdhsa_group_segment_fixed_size 0
		.amdhsa_private_segment_fixed_size 0
		.amdhsa_kernarg_size 104
		.amdhsa_user_sgpr_count 6
		.amdhsa_user_sgpr_private_segment_buffer 1
		.amdhsa_user_sgpr_dispatch_ptr 0
		.amdhsa_user_sgpr_queue_ptr 0
		.amdhsa_user_sgpr_kernarg_segment_ptr 1
		.amdhsa_user_sgpr_dispatch_id 0
		.amdhsa_user_sgpr_flat_scratch_init 0
		.amdhsa_user_sgpr_private_segment_size 0
		.amdhsa_uses_dynamic_stack 0
		.amdhsa_system_sgpr_private_segment_wavefront_offset 0
		.amdhsa_system_sgpr_workgroup_id_x 1
		.amdhsa_system_sgpr_workgroup_id_y 0
		.amdhsa_system_sgpr_workgroup_id_z 0
		.amdhsa_system_sgpr_workgroup_info 0
		.amdhsa_system_vgpr_workitem_id 0
		.amdhsa_next_free_vgpr 104
		.amdhsa_next_free_sgpr 32
		.amdhsa_reserve_vcc 1
		.amdhsa_reserve_flat_scratch 0
		.amdhsa_float_round_mode_32 0
		.amdhsa_float_round_mode_16_64 0
		.amdhsa_float_denorm_mode_32 3
		.amdhsa_float_denorm_mode_16_64 3
		.amdhsa_dx10_clamp 1
		.amdhsa_ieee_mode 1
		.amdhsa_fp16_overflow 0
		.amdhsa_exception_fp_ieee_invalid_op 0
		.amdhsa_exception_fp_denorm_src 0
		.amdhsa_exception_fp_ieee_div_zero 0
		.amdhsa_exception_fp_ieee_overflow 0
		.amdhsa_exception_fp_ieee_underflow 0
		.amdhsa_exception_fp_ieee_inexact 0
		.amdhsa_exception_int_div_zero 0
	.end_amdhsa_kernel
	.text
.Lfunc_end0:
	.size	fft_rtc_back_len1176_factors_2_2_2_3_7_7_wgs_56_tpt_56_halfLds_sp_op_CI_CI_sbrr_dirReg, .Lfunc_end0-fft_rtc_back_len1176_factors_2_2_2_3_7_7_wgs_56_tpt_56_halfLds_sp_op_CI_CI_sbrr_dirReg
                                        ; -- End function
	.section	.AMDGPU.csdata,"",@progbits
; Kernel info:
; codeLenInByte = 13692
; NumSgprs: 36
; NumVgprs: 104
; ScratchSize: 0
; MemoryBound: 0
; FloatMode: 240
; IeeeMode: 1
; LDSByteSize: 0 bytes/workgroup (compile time only)
; SGPRBlocks: 4
; VGPRBlocks: 25
; NumSGPRsForWavesPerEU: 36
; NumVGPRsForWavesPerEU: 104
; Occupancy: 2
; WaveLimiterHint : 1
; COMPUTE_PGM_RSRC2:SCRATCH_EN: 0
; COMPUTE_PGM_RSRC2:USER_SGPR: 6
; COMPUTE_PGM_RSRC2:TRAP_HANDLER: 0
; COMPUTE_PGM_RSRC2:TGID_X_EN: 1
; COMPUTE_PGM_RSRC2:TGID_Y_EN: 0
; COMPUTE_PGM_RSRC2:TGID_Z_EN: 0
; COMPUTE_PGM_RSRC2:TIDIG_COMP_CNT: 0
	.type	__hip_cuid_f06abc480f3ab7f0,@object ; @__hip_cuid_f06abc480f3ab7f0
	.section	.bss,"aw",@nobits
	.globl	__hip_cuid_f06abc480f3ab7f0
__hip_cuid_f06abc480f3ab7f0:
	.byte	0                               ; 0x0
	.size	__hip_cuid_f06abc480f3ab7f0, 1

	.ident	"AMD clang version 19.0.0git (https://github.com/RadeonOpenCompute/llvm-project roc-6.4.0 25133 c7fe45cf4b819c5991fe208aaa96edf142730f1d)"
	.section	".note.GNU-stack","",@progbits
	.addrsig
	.addrsig_sym __hip_cuid_f06abc480f3ab7f0
	.amdgpu_metadata
---
amdhsa.kernels:
  - .args:
      - .actual_access:  read_only
        .address_space:  global
        .offset:         0
        .size:           8
        .value_kind:     global_buffer
      - .offset:         8
        .size:           8
        .value_kind:     by_value
      - .actual_access:  read_only
        .address_space:  global
        .offset:         16
        .size:           8
        .value_kind:     global_buffer
      - .actual_access:  read_only
        .address_space:  global
        .offset:         24
        .size:           8
        .value_kind:     global_buffer
      - .actual_access:  read_only
        .address_space:  global
        .offset:         32
        .size:           8
        .value_kind:     global_buffer
      - .offset:         40
        .size:           8
        .value_kind:     by_value
      - .actual_access:  read_only
        .address_space:  global
        .offset:         48
        .size:           8
        .value_kind:     global_buffer
      - .actual_access:  read_only
        .address_space:  global
        .offset:         56
        .size:           8
        .value_kind:     global_buffer
      - .offset:         64
        .size:           4
        .value_kind:     by_value
      - .actual_access:  read_only
        .address_space:  global
        .offset:         72
        .size:           8
        .value_kind:     global_buffer
      - .actual_access:  read_only
        .address_space:  global
        .offset:         80
        .size:           8
        .value_kind:     global_buffer
      - .actual_access:  read_only
        .address_space:  global
        .offset:         88
        .size:           8
        .value_kind:     global_buffer
      - .actual_access:  write_only
        .address_space:  global
        .offset:         96
        .size:           8
        .value_kind:     global_buffer
    .group_segment_fixed_size: 0
    .kernarg_segment_align: 8
    .kernarg_segment_size: 104
    .language:       OpenCL C
    .language_version:
      - 2
      - 0
    .max_flat_workgroup_size: 56
    .name:           fft_rtc_back_len1176_factors_2_2_2_3_7_7_wgs_56_tpt_56_halfLds_sp_op_CI_CI_sbrr_dirReg
    .private_segment_fixed_size: 0
    .sgpr_count:     36
    .sgpr_spill_count: 0
    .symbol:         fft_rtc_back_len1176_factors_2_2_2_3_7_7_wgs_56_tpt_56_halfLds_sp_op_CI_CI_sbrr_dirReg.kd
    .uniform_work_group_size: 1
    .uses_dynamic_stack: false
    .vgpr_count:     104
    .vgpr_spill_count: 0
    .wavefront_size: 64
amdhsa.target:   amdgcn-amd-amdhsa--gfx906
amdhsa.version:
  - 1
  - 2
...

	.end_amdgpu_metadata
